;; amdgpu-corpus repo=ROCm/rocFFT kind=compiled arch=gfx1030 opt=O3
	.text
	.amdgcn_target "amdgcn-amd-amdhsa--gfx1030"
	.amdhsa_code_object_version 6
	.protected	bluestein_single_back_len1089_dim1_dp_op_CI_CI ; -- Begin function bluestein_single_back_len1089_dim1_dp_op_CI_CI
	.globl	bluestein_single_back_len1089_dim1_dp_op_CI_CI
	.p2align	8
	.type	bluestein_single_back_len1089_dim1_dp_op_CI_CI,@function
bluestein_single_back_len1089_dim1_dp_op_CI_CI: ; @bluestein_single_back_len1089_dim1_dp_op_CI_CI
; %bb.0:
	s_load_dwordx4 s[16:19], s[4:5], 0x28
	v_mul_u32_u24_e32 v1, 0x21e, v0
	s_mov_b64 s[46:47], s[2:3]
	s_mov_b64 s[44:45], s[0:1]
	v_mov_b32_e32 v6, 0
	s_add_u32 s44, s44, s7
	v_lshrrev_b32_e32 v1, 16, v1
	s_addc_u32 s45, s45, 0
	s_mov_b32 s0, exec_lo
	v_add_nc_u32_e32 v5, s6, v1
	s_waitcnt lgkmcnt(0)
	v_cmpx_gt_u64_e64 s[16:17], v[5:6]
	s_cbranch_execz .LBB0_18
; %bb.1:
	s_clause 0x1
	s_load_dwordx4 s[0:3], s[4:5], 0x18
	s_load_dwordx4 s[12:15], s[4:5], 0x0
	v_mul_lo_u16 v1, 0x79, v1
	v_mov_b32_e32 v6, v5
                                        ; implicit-def: $vgpr116_vgpr117
	v_sub_nc_u16 v0, v0, v1
	v_and_b32_e32 v18, 0xffff, v0
	v_lshlrev_b32_e32 v19, 4, v18
	s_waitcnt lgkmcnt(0)
	s_load_dwordx4 s[8:11], s[0:1], 0x0
	buffer_store_dword v6, off, s[44:47], 0 ; 4-byte Folded Spill
	buffer_store_dword v7, off, s[44:47], 0 offset:4 ; 4-byte Folded Spill
	v_add_co_u32 v17, s0, s12, v19
	v_add_co_ci_u32_e64 v28, null, s13, 0, s0
	s_clause 0x1
	global_load_dwordx4 v[29:32], v19, s[12:13]
	global_load_dwordx4 v[92:95], v19, s[12:13] offset:1936
	s_waitcnt lgkmcnt(0)
	v_mad_u64_u32 v[1:2], null, s10, v5, 0
	v_mad_u64_u32 v[3:4], null, s8, v18, 0
	s_mul_i32 s0, s9, 0x16b0
	s_mul_hi_u32 s1, s8, 0x16b0
	s_mul_i32 s6, s8, 0x16b0
	s_add_i32 s1, s1, s0
	s_mul_i32 s0, s9, 0xffffda30
	v_mad_u64_u32 v[5:6], null, s11, v5, v[2:3]
	s_sub_i32 s0, s0, s8
	v_mad_u64_u32 v[6:7], null, s9, v18, v[4:5]
	v_mov_b32_e32 v2, v5
	v_lshlrev_b64 v[1:2], 4, v[1:2]
	v_mov_b32_e32 v4, v6
	v_add_co_u32 v1, vcc_lo, s18, v1
	v_lshlrev_b64 v[3:4], 4, v[3:4]
	v_add_co_ci_u32_e32 v2, vcc_lo, s19, v2, vcc_lo
	v_add_co_u32 v1, vcc_lo, v1, v3
	v_add_co_ci_u32_e32 v2, vcc_lo, v2, v4, vcc_lo
	v_add_co_u32 v5, vcc_lo, v1, s6
	;; [unrolled: 2-line block ×5, first 2 shown]
	v_add_co_ci_u32_e32 v8, vcc_lo, 0, v28, vcc_lo
	v_mad_u64_u32 v[13:14], null, 0xffffda30, s8, v[9:10]
	v_add_co_u32 v11, vcc_lo, 0x1800, v17
	v_add_co_ci_u32_e32 v12, vcc_lo, 0, v28, vcc_lo
	v_add_co_u32 v15, vcc_lo, 0x3000, v17
	v_add_co_ci_u32_e32 v16, vcc_lo, 0, v28, vcc_lo
	v_add_nc_u32_e32 v14, s0, v14
	v_add_co_u32 v20, vcc_lo, 0x800, v17
	v_add_co_ci_u32_e32 v21, vcc_lo, 0, v28, vcc_lo
	v_add_co_u32 v22, vcc_lo, v13, s6
	v_add_co_ci_u32_e32 v23, vcc_lo, s1, v14, vcc_lo
	;; [unrolled: 2-line block ×5, first 2 shown]
	v_mad_u64_u32 v[44:45], null, 0xffffda30, s8, v[26:27]
	s_clause 0x4
	global_load_dwordx4 v[112:115], v[3:4], off offset:1712
	global_load_dwordx4 v[108:111], v[7:8], off offset:1376
	;; [unrolled: 1-line block ×5, first 2 shown]
	s_clause 0x4
	global_load_dwordx4 v[1:4], v[1:2], off
	global_load_dwordx4 v[5:8], v[5:6], off
	;; [unrolled: 1-line block ×6, first 2 shown]
	v_mul_lo_u16 v17, v0, 3
	v_add_nc_u32_e32 v45, s0, v45
	v_add_co_u32 v48, vcc_lo, v44, s6
	v_add_co_ci_u32_e32 v49, vcc_lo, s1, v45, vcc_lo
	v_add_co_u32 v54, vcc_lo, v48, s6
	v_add_co_ci_u32_e32 v55, vcc_lo, s1, v49, vcc_lo
	global_load_dwordx4 v[44:47], v[44:45], off
	global_load_dwordx4 v[20:23], v[24:25], off offset:1488
	global_load_dwordx4 v[48:51], v[48:49], off
	global_load_dwordx4 v[24:27], v[52:53], off offset:1152
	global_load_dwordx4 v[52:55], v[54:55], off
	s_mov_b32 s0, 0xe8584caa
	s_mov_b32 s1, 0x3febb67a
	v_cmp_gt_u16_e32 vcc_lo, 0x63, v0
	s_waitcnt vmcnt(10)
	v_mul_f64 v[56:57], v[3:4], v[31:32]
	s_waitcnt vmcnt(9)
	v_mul_f64 v[60:61], v[7:8], v[114:115]
	;; [unrolled: 2-line block ×6, first 2 shown]
	v_mul_f64 v[58:59], v[1:2], v[31:32]
	v_mul_f64 v[62:63], v[5:6], v[114:115]
	;; [unrolled: 1-line block ×6, first 2 shown]
	s_waitcnt vmcnt(4)
	v_mul_f64 v[80:81], v[46:47], v[98:99]
	v_mul_f64 v[82:83], v[44:45], v[98:99]
	s_waitcnt vmcnt(2)
	v_mul_f64 v[84:85], v[50:51], v[22:23]
	v_mul_f64 v[86:87], v[48:49], v[22:23]
	;; [unrolled: 3-line block ×3, first 2 shown]
	v_fma_f64 v[1:2], v[1:2], v[29:30], v[56:57]
	buffer_store_dword v29, off, s[44:47], 0 offset:8 ; 4-byte Folded Spill
	buffer_store_dword v30, off, s[44:47], 0 offset:12 ; 4-byte Folded Spill
	buffer_store_dword v31, off, s[44:47], 0 offset:16 ; 4-byte Folded Spill
	buffer_store_dword v32, off, s[44:47], 0 offset:20 ; 4-byte Folded Spill
	v_fma_f64 v[5:6], v[5:6], v[112:113], v[60:61]
	buffer_store_dword v112, off, s[44:47], 0 offset:136 ; 4-byte Folded Spill
	buffer_store_dword v113, off, s[44:47], 0 offset:140 ; 4-byte Folded Spill
	buffer_store_dword v114, off, s[44:47], 0 offset:144 ; 4-byte Folded Spill
	buffer_store_dword v115, off, s[44:47], 0 offset:148 ; 4-byte Folded Spill
	;; [unrolled: 5-line block ×9, first 2 shown]
	s_load_dwordx4 s[8:11], s[2:3], 0x0
	s_load_dwordx2 s[2:3], s[4:5], 0x38
	s_mov_b32 s5, 0xbfebb67a
	s_mov_b32 s4, s0
	v_fma_f64 v[3:4], v[3:4], v[29:30], -v[58:59]
	v_fma_f64 v[7:8], v[7:8], v[112:113], -v[62:63]
                                        ; implicit-def: $vgpr112_vgpr113
	v_fma_f64 v[11:12], v[11:12], v[108:109], -v[66:67]
	v_fma_f64 v[15:16], v[15:16], v[92:93], -v[70:71]
	;; [unrolled: 1-line block ×7, first 2 shown]
	ds_write_b128 v19, v[1:4]
	ds_write_b128 v19, v[5:8] offset:5808
	ds_write_b128 v19, v[9:12] offset:11616
	;; [unrolled: 1-line block ×8, first 2 shown]
	s_waitcnt lgkmcnt(0)
	s_waitcnt_vscnt null, 0x0
	s_barrier
	buffer_gl0_inv
	ds_read_b128 v[1:4], v19 offset:5808
	ds_read_b128 v[5:8], v19 offset:11616
	;; [unrolled: 1-line block ×6, first 2 shown]
	ds_read_b128 v[44:47], v19
	ds_read_b128 v[48:51], v19 offset:1936
	ds_read_b128 v[52:55], v19 offset:3872
	s_waitcnt lgkmcnt(0)
	s_barrier
	buffer_gl0_inv
	v_add_f64 v[56:57], v[1:2], v[5:6]
	v_add_f64 v[58:59], v[3:4], v[7:8]
	;; [unrolled: 1-line block ×7, first 2 shown]
	v_add_f64 v[70:71], v[3:4], -v[7:8]
	v_add_f64 v[3:4], v[46:47], v[3:4]
	v_add_f64 v[72:73], v[48:49], v[9:10]
	;; [unrolled: 1-line block ×5, first 2 shown]
	v_add_f64 v[1:2], v[1:2], -v[5:6]
	v_add_f64 v[9:10], v[9:10], -v[13:14]
	;; [unrolled: 1-line block ×4, first 2 shown]
	v_fma_f64 v[44:45], v[56:57], -0.5, v[44:45]
	v_fma_f64 v[46:47], v[58:59], -0.5, v[46:47]
	v_add_f64 v[56:57], v[11:12], -v[15:16]
	v_fma_f64 v[48:49], v[60:61], -0.5, v[48:49]
	v_fma_f64 v[50:51], v[62:63], -0.5, v[50:51]
	;; [unrolled: 1-line block ×4, first 2 shown]
	v_add_f64 v[76:77], v[68:69], v[5:6]
	v_add_f64 v[78:79], v[3:4], v[7:8]
	;; [unrolled: 1-line block ×6, first 2 shown]
	v_add_co_u32 v12, s6, 0xf2, v18
	v_mov_b32_e32 v11, 4
	v_mul_u32_u24_e32 v4, 3, v12
	v_fma_f64 v[108:109], v[70:71], s[0:1], v[44:45]
	v_fma_f64 v[104:105], v[70:71], s[4:5], v[44:45]
	v_fma_f64 v[110:111], v[1:2], s[4:5], v[46:47]
	v_fma_f64 v[106:107], v[1:2], s[0:1], v[46:47]
	v_fma_f64 v[88:89], v[56:57], s[0:1], v[48:49]
	v_fma_f64 v[80:81], v[56:57], s[4:5], v[48:49]
	v_fma_f64 v[90:91], v[9:10], s[4:5], v[50:51]
	v_fma_f64 v[82:83], v[9:10], s[0:1], v[50:51]
	v_fma_f64 v[92:93], v[38:39], s[0:1], v[52:53]
	v_fma_f64 v[100:101], v[38:39], s[4:5], v[52:53]
	v_fma_f64 v[94:95], v[36:37], s[4:5], v[54:55]
	v_fma_f64 v[102:103], v[36:37], s[0:1], v[54:55]
	v_add_co_u32 v13, s0, 0x79, v18
	v_add_co_ci_u32_e64 v1, null, 0, 0, s0
	v_add_co_ci_u32_e64 v1, null, 0, 0, s6
	v_mul_u32_u24_e32 v3, 3, v13
	v_lshlrev_b32_sdwa v2, v11, v17 dst_sel:DWORD dst_unused:UNUSED_PAD src0_sel:DWORD src1_sel:WORD_0
	v_lshlrev_b32_e32 v0, 4, v4
	ds_write_b128 v2, v[76:79]
	ds_write_b128 v2, v[108:111] offset:16
	v_lshlrev_b32_e32 v1, 4, v3
	buffer_store_dword v2, off, s[44:47], 0 offset:168 ; 4-byte Folded Spill
	ds_write_b128 v2, v[104:107] offset:32
	ds_write_b128 v1, v[96:99]
	ds_write_b128 v1, v[88:91] offset:16
	buffer_store_dword v1, off, s[44:47], 0 offset:164 ; 4-byte Folded Spill
	ds_write_b128 v1, v[80:83] offset:32
	ds_write_b128 v0, v[84:87]
	ds_write_b128 v0, v[92:95] offset:16
	buffer_store_dword v0, off, s[44:47], 0 offset:160 ; 4-byte Folded Spill
	ds_write_b128 v0, v[100:103] offset:32
	s_waitcnt lgkmcnt(0)
	s_waitcnt_vscnt null, 0x0
	s_barrier
	buffer_gl0_inv
	s_and_saveexec_b32 s0, vcc_lo
	s_cbranch_execz .LBB0_3
; %bb.2:
	ds_read_b128 v[76:79], v19
	ds_read_b128 v[108:111], v19 offset:1584
	ds_read_b128 v[104:107], v19 offset:3168
	ds_read_b128 v[96:99], v19 offset:4752
	ds_read_b128 v[88:91], v19 offset:6336
	ds_read_b128 v[80:83], v19 offset:7920
	ds_read_b128 v[84:87], v19 offset:9504
	ds_read_b128 v[92:95], v19 offset:11088
	ds_read_b128 v[100:103], v19 offset:12672
	ds_read_b128 v[112:115], v19 offset:14256
	ds_read_b128 v[116:119], v19 offset:15840
.LBB0_3:
	s_or_b32 exec_lo, exec_lo, s0
	v_and_b32_e32 v14, 0xff, v18
	s_mov_b32 s0, 0xf8bb580b
	s_mov_b32 s4, 0x8eee2c13
	s_mov_b32 s1, 0xbfe14ced
	s_mov_b32 s5, 0xbfed1bb4
	v_mul_lo_u16 v0, 0xab, v14
	s_mov_b32 s6, 0x8764f0ba
	s_mov_b32 s16, 0xd9c712b6
	;; [unrolled: 1-line block ×4, first 2 shown]
	v_lshrrev_b16 v0, 9, v0
	s_mov_b32 s17, 0x3fda9628
	s_mov_b32 s19, 0xbfe82f19
	;; [unrolled: 1-line block ×4, first 2 shown]
	buffer_store_dword v0, off, s[44:47], 0 offset:152 ; 4-byte Folded Spill
	v_mul_lo_u16 v0, v0, 3
	s_mov_b32 s26, 0xfd768dbf
	s_mov_b32 s21, 0xbfefac9e
	;; [unrolled: 1-line block ×4, first 2 shown]
	v_sub_nc_u16 v0, v18, v0
	s_mov_b32 s30, 0x640f44db
	s_mov_b32 s24, 0x9bcd5057
	;; [unrolled: 1-line block ×4, first 2 shown]
	v_and_b32_e32 v0, 0xff, v0
	s_mov_b32 s37, 0x3fefac9e
	s_mov_b32 s36, s20
	;; [unrolled: 1-line block ×4, first 2 shown]
	buffer_store_dword v0, off, s[44:47], 0 offset:156 ; 4-byte Folded Spill
	v_mul_u32_u24_e32 v0, 10, v0
	s_mov_b32 s28, s26
	s_mov_b32 s34, s0
	v_lshlrev_b32_e32 v0, 4, v0
	s_clause 0x9
	global_load_dwordx4 v[60:63], v0, s[14:15]
	global_load_dwordx4 v[72:75], v0, s[14:15] offset:144
	global_load_dwordx4 v[68:71], v0, s[14:15] offset:16
	;; [unrolled: 1-line block ×9, first 2 shown]
	s_waitcnt vmcnt(0) lgkmcnt(0)
	s_waitcnt_vscnt null, 0x0
	s_barrier
	buffer_gl0_inv
	v_mul_f64 v[0:1], v[108:109], v[62:63]
	v_mul_f64 v[2:3], v[116:117], v[74:75]
	;; [unrolled: 1-line block ×14, first 2 shown]
	v_fma_f64 v[128:129], v[110:111], v[60:61], v[0:1]
	v_fma_f64 v[110:111], v[118:119], v[72:73], v[2:3]
	v_fma_f64 v[130:131], v[108:109], v[60:61], -v[4:5]
	v_fma_f64 v[108:109], v[116:117], v[72:73], -v[6:7]
	v_mul_f64 v[0:1], v[96:97], v[58:59]
	v_mul_f64 v[2:3], v[100:101], v[54:55]
	;; [unrolled: 1-line block ×4, first 2 shown]
	v_fma_f64 v[116:117], v[106:107], v[68:69], v[8:9]
	v_fma_f64 v[106:107], v[114:115], v[64:65], v[10:11]
	v_fma_f64 v[114:115], v[104:105], v[68:69], -v[15:16]
	v_fma_f64 v[104:105], v[112:113], v[64:65], -v[120:121]
	v_mul_f64 v[15:16], v[88:89], v[50:51]
	v_mul_f64 v[120:121], v[92:93], v[239:240]
	v_fma_f64 v[164:165], v[88:89], v[48:49], -v[122:123]
	v_fma_f64 v[140:141], v[92:93], v[237:238], -v[124:125]
	v_fma_f64 v[166:167], v[80:81], v[40:41], -v[126:127]
	v_fma_f64 v[170:171], v[82:83], v[40:41], v[132:133]
	v_fma_f64 v[162:163], v[84:85], v[36:37], -v[134:135]
	v_fma_f64 v[168:169], v[86:87], v[36:37], v[142:143]
	v_add_f64 v[176:177], v[128:129], -v[110:111]
	v_add_f64 v[178:179], v[130:131], -v[108:109]
	v_fma_f64 v[112:113], v[98:99], v[56:57], v[0:1]
	v_fma_f64 v[98:99], v[102:103], v[52:53], v[2:3]
	v_fma_f64 v[102:103], v[96:97], v[56:57], -v[4:5]
	v_fma_f64 v[96:97], v[100:101], v[52:53], -v[6:7]
	v_add_f64 v[0:1], v[130:131], v[108:109]
	v_add_f64 v[100:101], v[116:117], -v[106:107]
	v_add_f64 v[2:3], v[128:129], v[110:111]
	v_add_f64 v[118:119], v[114:115], -v[104:105]
	v_fma_f64 v[160:161], v[90:91], v[48:49], v[15:16]
	v_fma_f64 v[138:139], v[94:95], v[237:238], v[120:121]
	v_add_f64 v[136:137], v[114:115], v[104:105]
	v_add_f64 v[148:149], v[116:117], v[106:107]
	v_add_f64 v[132:133], v[164:165], -v[140:141]
	v_add_f64 v[84:85], v[166:167], -v[162:163]
	v_add_f64 v[80:81], v[170:171], -v[168:169]
	v_mul_f64 v[4:5], v[176:177], s[0:1]
	v_mul_f64 v[8:9], v[176:177], s[4:5]
	;; [unrolled: 1-line block ×4, first 2 shown]
	v_add_f64 v[88:89], v[112:113], -v[98:99]
	v_add_f64 v[146:147], v[112:113], v[98:99]
	v_add_f64 v[92:93], v[102:103], -v[96:97]
	v_add_f64 v[90:91], v[102:103], v[96:97]
	v_mul_f64 v[180:181], v[100:101], s[4:5]
	v_mul_f64 v[152:153], v[100:101], s[18:19]
	v_mul_f64 v[182:183], v[118:119], s[4:5]
	v_mul_f64 v[158:159], v[118:119], s[18:19]
	v_add_f64 v[82:83], v[160:161], -v[138:139]
	v_add_f64 v[154:155], v[160:161], v[138:139]
	v_mul_f64 v[195:196], v[132:133], s[18:19]
	v_mul_f64 v[174:175], v[132:133], s[36:37]
	;; [unrolled: 1-line block ×5, first 2 shown]
	v_fma_f64 v[15:16], v[0:1], s[6:7], v[4:5]
	v_fma_f64 v[120:121], v[0:1], s[16:17], v[8:9]
	v_fma_f64 v[94:95], v[2:3], s[6:7], -v[6:7]
	v_fma_f64 v[122:123], v[2:3], s[16:17], -v[10:11]
	v_mul_f64 v[185:186], v[88:89], s[20:21]
	v_mul_f64 v[150:151], v[88:89], s[26:27]
	;; [unrolled: 1-line block ×4, first 2 shown]
	v_fma_f64 v[86:87], v[136:137], s[16:17], v[180:181]
	v_fma_f64 v[126:127], v[136:137], s[22:23], v[152:153]
	v_fma_f64 v[124:125], v[148:149], s[16:17], -v[182:183]
	v_fma_f64 v[134:135], v[148:149], s[22:23], -v[158:159]
	v_mul_f64 v[191:192], v[82:83], s[18:19]
	v_mul_f64 v[172:173], v[82:83], s[36:37]
	v_fma_f64 v[205:206], v[154:155], s[22:23], -v[195:196]
	v_fma_f64 v[209:210], v[154:155], s[30:31], -v[174:175]
	v_add_f64 v[15:16], v[76:77], v[15:16]
	v_add_f64 v[120:121], v[76:77], v[120:121]
	v_add_f64 v[142:143], v[78:79], v[94:95]
	v_add_f64 v[122:123], v[78:79], v[122:123]
	v_add_f64 v[94:95], v[164:165], v[140:141]
	v_fma_f64 v[197:198], v[90:91], s[30:31], v[185:186]
	v_fma_f64 v[199:200], v[146:147], s[30:31], -v[187:188]
	v_fma_f64 v[201:202], v[90:91], s[24:25], v[150:151]
	v_fma_f64 v[203:204], v[146:147], s[24:25], -v[156:157]
	v_add_f64 v[15:16], v[86:87], v[15:16]
	v_add_f64 v[120:121], v[126:127], v[120:121]
	v_add_f64 v[124:125], v[124:125], v[142:143]
	v_add_f64 v[122:123], v[134:135], v[122:123]
	v_add_f64 v[86:87], v[166:167], v[162:163]
	v_add_f64 v[134:135], v[170:171], v[168:169]
	v_mul_f64 v[142:143], v[80:81], s[34:35]
	v_fma_f64 v[126:127], v[94:95], s[22:23], v[191:192]
	v_fma_f64 v[207:208], v[94:95], s[30:31], v[172:173]
	v_add_f64 v[15:16], v[197:198], v[15:16]
	v_add_f64 v[120:121], v[201:202], v[120:121]
	;; [unrolled: 1-line block ×4, first 2 shown]
	v_fma_f64 v[197:198], v[86:87], s[24:25], v[189:190]
	v_fma_f64 v[199:200], v[134:135], s[24:25], -v[193:194]
	v_fma_f64 v[201:202], v[86:87], s[6:7], v[142:143]
	v_fma_f64 v[203:204], v[134:135], s[6:7], -v[144:145]
	v_add_f64 v[15:16], v[126:127], v[15:16]
	v_add_f64 v[126:127], v[207:208], v[120:121]
	;; [unrolled: 1-line block ×8, first 2 shown]
	s_and_saveexec_b32 s33, vcc_lo
	s_cbranch_execz .LBB0_5
; %bb.4:
	v_mul_f64 v[15:16], v[2:3], s[16:17]
	v_mul_f64 v[197:198], v[2:3], s[22:23]
	s_mov_b32 s39, 0x3fe82f19
	s_mov_b32 s38, s18
	v_mul_f64 v[205:206], v[176:177], s[18:19]
	v_add_f64 v[130:131], v[76:77], v[130:131]
	v_add_f64 v[128:129], v[78:79], v[128:129]
	s_mov_b32 s41, 0x3fed1bb4
	s_mov_b32 s40, s4
	v_mul_f64 v[221:222], v[134:135], s[30:31]
	v_mul_f64 v[223:224], v[80:81], s[20:21]
	v_add_f64 v[10:11], v[10:11], v[15:16]
	v_mul_f64 v[15:16], v[2:3], s[6:7]
	v_fma_f64 v[201:202], v[178:179], s[38:39], v[197:198]
	v_fma_f64 v[197:198], v[178:179], s[18:19], v[197:198]
	;; [unrolled: 1-line block ×3, first 2 shown]
	v_fma_f64 v[205:206], v[0:1], s[22:23], -v[205:206]
	v_add_f64 v[116:117], v[128:129], v[116:117]
	v_add_f64 v[114:115], v[130:131], v[114:115]
	v_mul_f64 v[130:131], v[136:137], s[22:23]
	v_mul_f64 v[128:129], v[134:135], s[24:25]
	v_add_f64 v[10:11], v[78:79], v[10:11]
	v_add_f64 v[6:7], v[6:7], v[15:16]
	v_mul_f64 v[15:16], v[0:1], s[6:7]
	v_add_f64 v[201:202], v[78:79], v[201:202]
	v_add_f64 v[197:198], v[78:79], v[197:198]
	;; [unrolled: 1-line block ×5, first 2 shown]
	v_mul_f64 v[116:117], v[148:149], s[22:23]
	v_add_f64 v[130:131], v[130:131], -v[152:153]
	v_mul_f64 v[152:153], v[148:149], s[30:31]
	v_add_f64 v[128:129], v[193:194], v[128:129]
	v_mul_f64 v[114:115], v[86:87], s[24:25]
	v_add_f64 v[4:5], v[15:16], -v[4:5]
	v_mul_f64 v[15:16], v[0:1], s[16:17]
	v_add_f64 v[112:113], v[112:113], v[160:161]
	v_add_f64 v[102:103], v[102:103], v[164:165]
	;; [unrolled: 1-line block ×3, first 2 shown]
	v_fma_f64 v[158:159], v[118:119], s[20:21], v[152:153]
	v_fma_f64 v[152:153], v[118:119], s[36:37], v[152:153]
	v_add_f64 v[114:115], v[114:115], -v[189:190]
	v_add_f64 v[213:214], v[76:77], v[4:5]
	v_add_f64 v[8:9], v[15:16], -v[8:9]
	v_mul_f64 v[15:16], v[2:3], s[24:25]
	v_mul_f64 v[2:3], v[2:3], s[30:31]
	;; [unrolled: 1-line block ×3, first 2 shown]
	v_add_f64 v[112:113], v[112:113], v[170:171]
	v_add_f64 v[102:103], v[102:103], v[166:167]
	;; [unrolled: 1-line block ×5, first 2 shown]
	v_fma_f64 v[199:200], v[178:179], s[26:27], v[15:16]
	v_fma_f64 v[15:16], v[178:179], s[28:29], v[15:16]
	;; [unrolled: 1-line block ×4, first 2 shown]
	v_mul_f64 v[178:179], v[176:177], s[28:29]
	v_mul_f64 v[176:177], v[176:177], s[20:21]
	v_add_f64 v[112:113], v[112:113], v[168:169]
	v_add_f64 v[102:103], v[102:103], v[162:163]
	v_mul_f64 v[168:169], v[94:95], s[30:31]
	v_add_f64 v[8:9], v[130:131], v[8:9]
	v_add_f64 v[15:16], v[78:79], v[15:16]
	;; [unrolled: 1-line block ×3, first 2 shown]
	v_fma_f64 v[207:208], v[0:1], s[24:25], v[178:179]
	v_fma_f64 v[178:179], v[0:1], s[24:25], -v[178:179]
	v_fma_f64 v[211:212], v[0:1], s[30:31], -v[176:177]
	v_fma_f64 v[0:1], v[0:1], s[30:31], v[176:177]
	v_add_f64 v[176:177], v[78:79], v[199:200]
	v_add_f64 v[112:113], v[112:113], v[138:139]
	v_mul_f64 v[138:139], v[100:101], s[36:37]
	v_add_f64 v[102:103], v[102:103], v[140:141]
	v_add_f64 v[168:169], v[168:169], -v[172:173]
	v_add_f64 v[199:200], v[76:77], v[207:208]
	v_add_f64 v[178:179], v[76:77], v[178:179]
	;; [unrolled: 1-line block ×6, first 2 shown]
	v_fma_f64 v[0:1], v[118:119], s[0:1], v[4:5]
	v_mul_f64 v[6:7], v[100:101], s[34:35]
	v_add_f64 v[78:79], v[78:79], v[2:3]
	v_fma_f64 v[4:5], v[118:119], s[34:35], v[4:5]
	v_mul_f64 v[100:101], v[100:101], s[26:27]
	v_fma_f64 v[140:141], v[136:137], s[30:31], v[138:139]
	v_fma_f64 v[138:139], v[136:137], s[30:31], -v[138:139]
	v_add_f64 v[98:99], v[112:113], v[98:99]
	v_add_f64 v[96:97], v[102:103], v[96:97]
	v_mul_f64 v[102:103], v[154:155], s[24:25]
	v_mul_f64 v[112:113], v[154:155], s[6:7]
	v_add_f64 v[0:1], v[0:1], v[176:177]
	v_fma_f64 v[2:3], v[136:137], s[6:7], v[6:7]
	v_mul_f64 v[176:177], v[146:147], s[22:23]
	v_add_f64 v[4:5], v[4:5], v[15:16]
	v_fma_f64 v[6:7], v[136:137], s[6:7], -v[6:7]
	v_fma_f64 v[162:163], v[136:137], s[24:25], -v[100:101]
	v_fma_f64 v[100:101], v[136:137], s[24:25], v[100:101]
	v_add_f64 v[98:99], v[98:99], v[106:107]
	v_add_f64 v[140:141], v[140:141], v[207:208]
	;; [unrolled: 1-line block ×3, first 2 shown]
	v_fma_f64 v[170:171], v[132:133], s[0:1], v[112:113]
	v_fma_f64 v[112:113], v[132:133], s[34:35], v[112:113]
	v_add_f64 v[96:97], v[96:97], v[104:105]
	v_add_f64 v[2:3], v[2:3], v[199:200]
	v_fma_f64 v[199:200], v[92:93], s[38:39], v[176:177]
	v_fma_f64 v[15:16], v[92:93], s[18:19], v[176:177]
	v_add_f64 v[6:7], v[6:7], v[178:179]
	v_fma_f64 v[176:177], v[86:87], s[30:31], -v[223:224]
	v_mul_f64 v[178:179], v[146:147], s[30:31]
	v_add_f64 v[76:77], v[100:101], v[76:77]
	v_add_f64 v[0:1], v[199:200], v[0:1]
	v_mul_f64 v[199:200], v[88:89], s[18:19]
	v_add_f64 v[4:5], v[15:16], v[4:5]
	v_add_f64 v[178:179], v[187:188], v[178:179]
	v_fma_f64 v[215:216], v[90:91], s[22:23], v[199:200]
	v_fma_f64 v[15:16], v[90:91], s[22:23], -v[199:200]
	v_add_f64 v[2:3], v[215:216], v[2:3]
	v_mul_f64 v[215:216], v[154:155], s[16:17]
	v_add_f64 v[6:7], v[15:16], v[6:7]
	v_fma_f64 v[217:218], v[132:133], s[4:5], v[215:216]
	v_fma_f64 v[15:16], v[132:133], s[40:41], v[215:216]
	v_add_f64 v[0:1], v[217:218], v[0:1]
	v_mul_f64 v[217:218], v[82:83], s[40:41]
	v_add_f64 v[4:5], v[15:16], v[4:5]
	v_fma_f64 v[15:16], v[94:95], s[16:17], -v[217:218]
	v_fma_f64 v[219:220], v[94:95], s[16:17], v[217:218]
	v_add_f64 v[15:16], v[15:16], v[6:7]
	v_fma_f64 v[6:7], v[84:85], s[20:21], v[221:222]
	v_add_f64 v[219:220], v[219:220], v[2:3]
	;; [unrolled: 2-line block ×3, first 2 shown]
	v_add_f64 v[4:5], v[176:177], v[15:16]
	v_mul_f64 v[176:177], v[136:137], s[16:17]
	v_mul_f64 v[136:137], v[146:147], s[24:25]
	;; [unrolled: 1-line block ×4, first 2 shown]
	v_add_f64 v[2:3], v[2:3], v[0:1]
	v_fma_f64 v[0:1], v[86:87], s[30:31], v[223:224]
	v_add_f64 v[176:177], v[176:177], -v[180:181]
	v_add_f64 v[136:137], v[156:157], v[136:137]
	v_mul_f64 v[156:157], v[90:91], s[24:25]
	v_fma_f64 v[160:161], v[118:119], s[26:27], v[148:149]
	v_add_f64 v[15:16], v[182:183], v[15:16]
	v_mul_f64 v[182:183], v[154:155], s[22:23]
	v_mul_f64 v[180:181], v[90:91], s[30:31]
	v_fma_f64 v[118:119], v[118:119], s[28:29], v[148:149]
	v_add_f64 v[0:1], v[0:1], v[219:220]
	v_add_f64 v[148:149], v[176:177], v[213:214]
	;; [unrolled: 1-line block ×3, first 2 shown]
	v_add_f64 v[150:151], v[156:157], -v[150:151]
	v_mul_f64 v[156:157], v[146:147], s[6:7]
	v_mul_f64 v[146:147], v[146:147], s[16:17]
	v_add_f64 v[15:16], v[15:16], v[209:210]
	v_add_f64 v[180:181], v[180:181], -v[185:186]
	v_add_f64 v[182:183], v[195:196], v[182:183]
	v_mul_f64 v[184:185], v[94:95], s[22:23]
	v_add_f64 v[78:79], v[118:119], v[78:79]
	v_add_f64 v[8:9], v[150:151], v[8:9]
	v_fma_f64 v[164:165], v[92:93], s[34:35], v[156:157]
	v_fma_f64 v[156:157], v[92:93], s[0:1], v[156:157]
	;; [unrolled: 1-line block ×4, first 2 shown]
	v_mul_f64 v[146:147], v[154:155], s[30:31]
	v_fma_f64 v[154:155], v[132:133], s[26:27], v[102:103]
	v_fma_f64 v[102:103], v[132:133], s[28:29], v[102:103]
	v_add_f64 v[132:133], v[158:159], v[201:202]
	v_add_f64 v[158:159], v[160:161], v[203:204]
	v_mul_f64 v[160:161], v[88:89], s[0:1]
	v_mul_f64 v[88:89], v[88:89], s[40:41]
	v_add_f64 v[15:16], v[178:179], v[15:16]
	v_add_f64 v[184:185], v[184:185], -v[191:192]
	v_add_f64 v[148:149], v[180:181], v[148:149]
	v_add_f64 v[106:107], v[156:157], v[152:153]
	;; [unrolled: 1-line block ×5, first 2 shown]
	v_mul_f64 v[132:133], v[82:83], s[28:29]
	v_fma_f64 v[172:173], v[90:91], s[6:7], v[160:161]
	v_fma_f64 v[174:175], v[90:91], s[16:17], -v[88:89]
	v_fma_f64 v[88:89], v[90:91], s[16:17], v[88:89]
	v_fma_f64 v[160:161], v[90:91], s[6:7], -v[160:161]
	v_mul_f64 v[82:83], v[82:83], s[0:1]
	v_add_f64 v[90:91], v[162:163], v[211:212]
	v_add_f64 v[15:16], v[182:183], v[15:16]
	;; [unrolled: 1-line block ×7, first 2 shown]
	v_fma_f64 v[138:139], v[94:95], s[24:25], v[132:133]
	v_add_f64 v[104:105], v[172:173], v[140:141]
	v_fma_f64 v[132:133], v[94:95], s[24:25], -v[132:133]
	v_add_f64 v[76:77], v[88:89], v[76:77]
	v_add_f64 v[88:89], v[102:103], v[106:107]
	;; [unrolled: 1-line block ×3, first 2 shown]
	v_mul_f64 v[10:11], v[86:87], s[6:7]
	v_fma_f64 v[140:141], v[94:95], s[6:7], -v[82:83]
	v_fma_f64 v[82:83], v[94:95], s[6:7], v[82:83]
	v_add_f64 v[94:95], v[160:161], v[116:117]
	v_add_f64 v[90:91], v[174:175], v[90:91]
	;; [unrolled: 1-line block ×4, first 2 shown]
	v_mul_f64 v[8:9], v[134:135], s[16:17]
	v_add_f64 v[100:101], v[138:139], v[104:105]
	v_mul_f64 v[104:105], v[134:135], s[6:7]
	v_add_f64 v[116:117], v[10:11], -v[142:143]
	v_mul_f64 v[10:11], v[134:135], s[22:23]
	v_add_f64 v[132:133], v[132:133], v[94:95]
	v_add_f64 v[134:135], v[140:141], v[90:91]
	v_fma_f64 v[90:91], v[84:85], s[4:5], v[8:9]
	v_fma_f64 v[136:137], v[84:85], s[40:41], v[8:9]
	v_mul_f64 v[8:9], v[80:81], s[40:41]
	v_add_f64 v[104:105], v[144:145], v[104:105]
	v_add_f64 v[144:145], v[82:83], v[76:77]
	;; [unrolled: 1-line block ×3, first 2 shown]
	v_fma_f64 v[94:95], v[84:85], s[18:19], v[10:11]
	v_fma_f64 v[138:139], v[84:85], s[38:39], v[10:11]
	v_mul_f64 v[10:11], v[80:81], s[18:19]
	v_add_f64 v[82:83], v[90:91], v[92:93]
	v_add_f64 v[92:93], v[116:117], v[130:131]
	v_fma_f64 v[84:85], v[86:87], s[16:17], -v[8:9]
	v_fma_f64 v[80:81], v[86:87], s[16:17], v[8:9]
	v_add_f64 v[8:9], v[114:115], v[118:119]
	v_add_f64 v[90:91], v[94:95], v[102:103]
	;; [unrolled: 1-line block ×3, first 2 shown]
	v_fma_f64 v[140:141], v[86:87], s[22:23], -v[10:11]
	v_fma_f64 v[142:143], v[86:87], s[22:23], v[10:11]
	v_add_f64 v[10:11], v[128:129], v[15:16]
	buffer_load_dword v16, off, s[44:47], 0 offset:152 ; 4-byte Folded Reload
	v_mov_b32_e32 v15, 33
	v_add_f64 v[86:87], v[136:137], v[88:89]
	v_add_f64 v[84:85], v[84:85], v[132:133]
	;; [unrolled: 1-line block ×6, first 2 shown]
	s_waitcnt vmcnt(0)
	v_mul_u32_u24_sdwa v15, v16, v15 dst_sel:DWORD dst_unused:UNUSED_PAD src0_sel:WORD_0 src1_sel:DWORD
	buffer_load_dword v16, off, s[44:47], 0 offset:156 ; 4-byte Folded Reload
	s_waitcnt vmcnt(0)
	v_add_lshl_u32 v15, v15, v16, 4
	ds_write_b128 v15, v[76:79]
	ds_write_b128 v15, v[8:11] offset:48
	ds_write_b128 v15, v[92:95] offset:96
	;; [unrolled: 1-line block ×10, first 2 shown]
.LBB0_5:
	s_or_b32 exec_lo, exec_lo, s33
	v_mov_b32_e32 v0, 0xf83f
	v_mul_lo_u16 v1, 0xf9, v14
	v_and_b32_e32 v2, 0xff, v13
	s_waitcnt lgkmcnt(0)
	s_barrier
	v_mul_u32_u24_sdwa v0, v12, v0 dst_sel:DWORD dst_unused:UNUSED_PAD src0_sel:WORD_0 src1_sel:DWORD
	v_lshrrev_b16 v20, 13, v1
	v_mul_lo_u16 v1, 0xf9, v2
	buffer_gl0_inv
	s_mov_b32 s5, 0xbfebb67a
	v_lshrrev_b32_e32 v21, 21, v0
	v_mul_lo_u16 v0, v20, 33
	v_lshrrev_b16 v22, 13, v1
	v_mov_b32_e32 v26, 0x63
	v_mul_lo_u16 v1, v21, 33
	v_sub_nc_u16 v0, v18, v0
	v_mul_lo_u16 v2, v22, 33
	v_sub_nc_u16 v23, v12, v1
	v_and_b32_e32 v24, 0xff, v0
	v_sub_nc_u16 v0, v13, v2
	v_lshlrev_b16 v1, 5, v23
	v_lshlrev_b32_e32 v2, 5, v24
	v_and_b32_e32 v25, 0xff, v0
	s_clause 0x1
	global_load_dwordx4 v[80:83], v2, s[14:15] offset:496
	global_load_dwordx4 v[84:87], v2, s[14:15] offset:480
	v_and_b32_e32 v0, 0xffff, v1
	v_lshlrev_b32_e32 v2, 5, v25
	v_add_co_u32 v0, s0, s14, v0
	v_add_co_ci_u32_e64 v1, null, s15, 0, s0
	s_clause 0x3
	global_load_dwordx4 v[92:95], v2, s[14:15] offset:480
	global_load_dwordx4 v[88:91], v2, s[14:15] offset:496
	global_load_dwordx4 v[100:103], v[0:1], off offset:480
	global_load_dwordx4 v[96:99], v[0:1], off offset:496
	ds_read_b128 v[0:3], v19 offset:5808
	ds_read_b128 v[4:7], v19 offset:11616
	;; [unrolled: 1-line block ×7, first 2 shown]
	s_mov_b32 s0, 0xe8584caa
	s_mov_b32 s1, 0x3febb67a
	s_mov_b32 s4, s0
	s_waitcnt vmcnt(5) lgkmcnt(5)
	v_mul_f64 v[112:113], v[6:7], v[82:83]
	s_waitcnt vmcnt(4)
	v_mul_f64 v[16:17], v[2:3], v[86:87]
	v_mul_f64 v[114:115], v[0:1], v[86:87]
	;; [unrolled: 1-line block ×3, first 2 shown]
	s_waitcnt vmcnt(3) lgkmcnt(4)
	v_mul_f64 v[118:119], v[10:11], v[94:95]
	s_waitcnt vmcnt(2) lgkmcnt(3)
	v_mul_f64 v[128:129], v[14:15], v[90:91]
	v_mul_f64 v[130:131], v[8:9], v[94:95]
	;; [unrolled: 1-line block ×3, first 2 shown]
	s_waitcnt vmcnt(1) lgkmcnt(2)
	v_mul_f64 v[134:135], v[78:79], v[102:103]
	s_waitcnt vmcnt(0) lgkmcnt(1)
	v_mul_f64 v[136:137], v[106:107], v[98:99]
	v_mul_f64 v[138:139], v[76:77], v[102:103]
	;; [unrolled: 1-line block ×3, first 2 shown]
	v_fma_f64 v[112:113], v[4:5], v[80:81], -v[112:113]
	v_fma_f64 v[16:17], v[0:1], v[84:85], -v[16:17]
	v_fma_f64 v[114:115], v[2:3], v[84:85], v[114:115]
	v_fma_f64 v[116:117], v[6:7], v[80:81], v[116:117]
	ds_read_b128 v[0:3], v19
	ds_read_b128 v[4:7], v19 offset:1936
	s_waitcnt lgkmcnt(0)
	s_barrier
	buffer_gl0_inv
	v_fma_f64 v[8:9], v[8:9], v[92:93], -v[118:119]
	v_fma_f64 v[12:13], v[12:13], v[88:89], -v[128:129]
	v_fma_f64 v[10:11], v[10:11], v[92:93], v[130:131]
	v_fma_f64 v[14:15], v[14:15], v[88:89], v[132:133]
	v_fma_f64 v[76:77], v[76:77], v[100:101], -v[134:135]
	v_fma_f64 v[104:105], v[104:105], v[96:97], -v[136:137]
	v_fma_f64 v[78:79], v[78:79], v[100:101], v[138:139]
	v_fma_f64 v[106:107], v[106:107], v[96:97], v[140:141]
	v_add_f64 v[118:119], v[16:17], v[112:113]
	v_add_f64 v[138:139], v[0:1], v[16:17]
	;; [unrolled: 1-line block ×3, first 2 shown]
	v_add_f64 v[144:145], v[114:115], -v[116:117]
	v_add_f64 v[114:115], v[2:3], v[114:115]
	v_add_f64 v[16:17], v[16:17], -v[112:113]
	v_add_f64 v[140:141], v[4:5], v[8:9]
	v_add_f64 v[130:131], v[8:9], v[12:13]
	;; [unrolled: 1-line block ×8, first 2 shown]
	v_add_f64 v[10:11], v[10:11], -v[14:15]
	v_add_f64 v[8:9], v[8:9], -v[12:13]
	;; [unrolled: 1-line block ×4, first 2 shown]
	v_fma_f64 v[0:1], v[118:119], -0.5, v[0:1]
	v_add_f64 v[148:149], v[138:139], v[112:113]
	v_fma_f64 v[2:3], v[128:129], -0.5, v[2:3]
	v_add_f64 v[150:151], v[114:115], v[116:117]
	v_add_f64 v[128:129], v[140:141], v[12:13]
	v_fma_f64 v[4:5], v[130:131], -0.5, v[4:5]
	v_add_f64 v[130:131], v[142:143], v[14:15]
	v_fma_f64 v[6:7], v[132:133], -0.5, v[6:7]
	;; [unrolled: 2-line block ×4, first 2 shown]
	v_fma_f64 v[156:157], v[144:145], s[0:1], v[0:1]
	v_fma_f64 v[160:161], v[144:145], s[4:5], v[0:1]
	;; [unrolled: 1-line block ×4, first 2 shown]
	v_mov_b32_e32 v0, 4
	v_mul_u32_u24_sdwa v1, v20, v26 dst_sel:DWORD dst_unused:UNUSED_PAD src0_sel:WORD_0 src1_sel:DWORD
	v_mul_u32_u24_sdwa v2, v22, v26 dst_sel:DWORD dst_unused:UNUSED_PAD src0_sel:WORD_0 src1_sel:DWORD
	v_mad_u16 v3, 0x63, v21, v23
	v_fma_f64 v[132:133], v[10:11], s[0:1], v[4:5]
	v_fma_f64 v[144:145], v[10:11], s[4:5], v[4:5]
	;; [unrolled: 1-line block ×8, first 2 shown]
	v_add_lshl_u32 v184, v1, v24, 4
	v_add_lshl_u32 v255, v2, v25, 4
	v_lshlrev_b32_sdwa v0, v0, v3 dst_sel:DWORD dst_unused:UNUSED_PAD src0_sel:DWORD src1_sel:WORD_0
	ds_write_b128 v184, v[148:151]
	ds_write_b128 v184, v[156:159] offset:528
	ds_write_b128 v184, v[160:163] offset:1056
	ds_write_b128 v255, v[128:131]
	ds_write_b128 v255, v[132:135] offset:528
	ds_write_b128 v255, v[144:147] offset:1056
	ds_write_b128 v0, v[140:143]
	ds_write_b128 v0, v[136:139] offset:528
	buffer_store_dword v0, off, s[44:47], 0 offset:172 ; 4-byte Folded Spill
	ds_write_b128 v0, v[152:155] offset:1056
	s_waitcnt lgkmcnt(0)
	s_waitcnt_vscnt null, 0x0
	s_barrier
	buffer_gl0_inv
	s_and_saveexec_b32 s0, vcc_lo
	s_cbranch_execz .LBB0_7
; %bb.6:
	ds_read_b128 v[148:151], v19
	ds_read_b128 v[156:159], v19 offset:1584
	ds_read_b128 v[160:163], v19 offset:3168
	ds_read_b128 v[128:131], v19 offset:4752
	ds_read_b128 v[132:135], v19 offset:6336
	ds_read_b128 v[144:147], v19 offset:7920
	ds_read_b128 v[140:143], v19 offset:9504
	ds_read_b128 v[136:139], v19 offset:11088
	ds_read_b128 v[152:155], v19 offset:12672
	ds_read_b128 v[124:127], v19 offset:14256
	ds_read_b128 v[120:123], v19 offset:15840
.LBB0_7:
	s_or_b32 exec_lo, exec_lo, s0
	v_add_nc_u32_e32 v0, 0xffffff9d, v18
	s_mov_b32 s4, 0x8eee2c13
	s_mov_b32 s5, 0xbfed1bb4
	;; [unrolled: 1-line block ×4, first 2 shown]
	v_cndmask_b32_e32 v0, v0, v18, vcc_lo
	s_mov_b32 s22, 0x640f44db
	s_mov_b32 s23, 0xbfc2375f
	;; [unrolled: 1-line block ×4, first 2 shown]
	v_mul_i32_i24_e32 v1, 0xa0, v0
	v_mul_hi_i32_i24_e32 v2, 0xa0, v0
	s_mov_b32 s28, 0xfd768dbf
	s_mov_b32 s29, 0x3fd207e7
	;; [unrolled: 1-line block ×3, first 2 shown]
	v_add_co_u32 v0, s0, s14, v1
	v_add_co_ci_u32_e64 v1, s0, s15, v2, s0
	s_mov_b32 s14, 0xf8bb580b
	s_mov_b32 s15, 0xbfe14ced
	;; [unrolled: 1-line block ×3, first 2 shown]
	s_clause 0x4
	global_load_dwordx4 v[10:13], v[0:1], off offset:1536
	global_load_dwordx4 v[116:119], v[0:1], off offset:1680
	global_load_dwordx4 v[104:107], v[0:1], off offset:1552
	global_load_dwordx4 v[108:111], v[0:1], off offset:1664
	global_load_dwordx4 v[112:115], v[0:1], off offset:1568
	s_mov_b32 s1, 0x3fda9628
	s_mov_b32 s26, s28
	;; [unrolled: 1-line block ×8, first 2 shown]
	s_waitcnt vmcnt(4) lgkmcnt(9)
	v_mul_f64 v[2:3], v[158:159], v[12:13]
	v_mul_f64 v[4:5], v[156:157], v[12:13]
	s_waitcnt vmcnt(3) lgkmcnt(0)
	v_mul_f64 v[6:7], v[120:121], v[118:119]
	v_mul_f64 v[8:9], v[122:123], v[118:119]
	v_fma_f64 v[189:190], v[156:157], v[10:11], -v[2:3]
	buffer_store_dword v10, off, s[44:47], 0 offset:176 ; 4-byte Folded Spill
	buffer_store_dword v11, off, s[44:47], 0 offset:180 ; 4-byte Folded Spill
	;; [unrolled: 1-line block ×4, first 2 shown]
	s_waitcnt vmcnt(2)
	v_mul_f64 v[2:3], v[162:163], v[106:107]
	v_fma_f64 v[24:25], v[122:123], v[116:117], v[6:7]
	v_fma_f64 v[22:23], v[120:121], v[116:117], -v[8:9]
	s_waitcnt vmcnt(1)
	v_mul_f64 v[6:7], v[124:125], v[110:111]
	v_mul_f64 v[8:9], v[126:127], v[110:111]
	global_load_dwordx4 v[120:123], v[0:1], off offset:1584
	v_fma_f64 v[164:165], v[160:161], v[104:105], -v[2:3]
	s_waitcnt vmcnt(1)
	v_mul_f64 v[2:3], v[130:131], v[114:115]
	v_fma_f64 v[227:228], v[128:129], v[112:113], -v[2:3]
	v_fma_f64 v[191:192], v[158:159], v[10:11], v[4:5]
	v_mul_f64 v[4:5], v[160:161], v[106:107]
	v_fma_f64 v[160:161], v[124:125], v[108:109], -v[8:9]
	v_add_f64 v[10:11], v[191:192], v[24:25]
	v_fma_f64 v[166:167], v[162:163], v[104:105], v[4:5]
	v_mul_f64 v[4:5], v[128:129], v[114:115]
	v_fma_f64 v[162:163], v[126:127], v[108:109], v[6:7]
	v_add_f64 v[199:200], v[164:165], v[160:161]
	v_add_f64 v[221:222], v[164:165], -v[160:161]
	v_fma_f64 v[168:169], v[130:131], v[112:113], v[4:5]
	s_clause 0x1
	global_load_dwordx4 v[124:127], v[0:1], off offset:1648
	global_load_dwordx4 v[128:131], v[0:1], off offset:1632
	v_add_f64 v[4:5], v[191:192], -v[24:25]
	v_add_f64 v[203:204], v[166:167], -v[162:163]
	v_add_f64 v[223:224], v[166:167], v[162:163]
	v_mul_f64 v[229:230], v[221:222], s[4:5]
	v_mul_f64 v[6:7], v[4:5], s[14:15]
	v_mul_f64 v[26:27], v[203:204], s[4:5]
	v_mul_f64 v[78:79], v[203:204], s[18:19]
	v_fma_f64 v[16:17], v[223:224], s[0:1], -v[229:230]
	v_fma_f64 v[8:9], v[199:200], s[0:1], v[26:27]
	s_waitcnt vmcnt(1)
	v_mul_f64 v[2:3], v[152:153], v[126:127]
	v_fma_f64 v[172:173], v[154:155], v[124:125], v[2:3]
	v_mul_f64 v[2:3], v[154:155], v[126:127]
	v_add_f64 v[195:196], v[168:169], -v[172:173]
	v_fma_f64 v[251:252], v[152:153], v[124:125], -v[2:3]
	v_mul_f64 v[2:3], v[134:135], v[122:123]
	v_add_f64 v[231:232], v[168:169], v[172:173]
	v_mul_f64 v[32:33], v[195:196], s[24:25]
	v_add_f64 v[193:194], v[227:228], v[251:252]
	v_fma_f64 v[176:177], v[132:133], v[120:121], -v[2:3]
	v_mul_f64 v[2:3], v[132:133], v[122:123]
	v_add_f64 v[225:226], v[227:228], -v[251:252]
	v_mul_f64 v[215:216], v[195:196], s[28:29]
	v_fma_f64 v[178:179], v[134:135], v[120:121], v[2:3]
	s_waitcnt vmcnt(0)
	v_mul_f64 v[2:3], v[138:139], v[130:131]
	v_mul_f64 v[76:77], v[225:226], s[24:25]
	;; [unrolled: 1-line block ×3, first 2 shown]
	v_fma_f64 v[44:45], v[136:137], v[128:129], -v[2:3]
	v_mul_f64 v[2:3], v[136:137], v[130:131]
	v_add_f64 v[217:218], v[176:177], v[44:45]
	v_fma_f64 v[174:175], v[138:139], v[128:129], v[2:3]
	s_clause 0x1
	global_load_dwordx4 v[132:135], v[0:1], off offset:1600
	global_load_dwordx4 v[136:139], v[0:1], off offset:1616
	v_add_f64 v[2:3], v[189:190], v[22:23]
	v_add_f64 v[233:234], v[176:177], -v[44:45]
	v_add_f64 v[219:220], v[178:179], -v[174:175]
	v_add_f64 v[235:236], v[178:179], v[174:175]
	v_mul_f64 v[46:47], v[233:234], s[18:19]
	v_mul_f64 v[249:250], v[233:234], s[34:35]
	;; [unrolled: 1-line block ×4, first 2 shown]
	s_waitcnt vmcnt(1)
	v_mul_f64 v[0:1], v[146:147], v[134:135]
	v_fma_f64 v[180:181], v[144:145], v[132:133], -v[0:1]
	v_mul_f64 v[0:1], v[144:145], v[134:135]
	v_fma_f64 v[185:186], v[146:147], v[132:133], v[0:1]
	s_waitcnt vmcnt(0)
	v_mul_f64 v[0:1], v[142:143], v[138:139]
	v_fma_f64 v[182:183], v[140:141], v[136:137], -v[0:1]
	v_mul_f64 v[0:1], v[140:141], v[138:139]
	v_add_f64 v[197:198], v[180:181], v[182:183]
	v_fma_f64 v[187:188], v[142:143], v[136:137], v[0:1]
	v_fma_f64 v[0:1], v[2:3], s[6:7], v[6:7]
	v_add_f64 v[205:206], v[180:181], -v[182:183]
	v_add_f64 v[201:202], v[185:186], -v[187:188]
	v_add_f64 v[0:1], v[148:149], v[0:1]
	v_add_f64 v[211:212], v[185:186], v[187:188]
	v_mul_f64 v[30:31], v[205:206], s[26:27]
	v_mul_f64 v[245:246], v[205:206], s[30:31]
	;; [unrolled: 1-line block ×3, first 2 shown]
	v_add_f64 v[0:1], v[8:9], v[0:1]
	v_add_f64 v[8:9], v[189:190], -v[22:23]
	v_mul_f64 v[158:159], v[201:202], s[30:31]
	v_fma_f64 v[20:21], v[211:212], s[6:7], -v[245:246]
	v_mul_f64 v[12:13], v[8:9], s[14:15]
	v_fma_f64 v[243:244], v[197:198], s[6:7], v[158:159]
	v_fma_f64 v[14:15], v[10:11], s[6:7], -v[12:13]
	v_add_f64 v[14:15], v[150:151], v[14:15]
	v_add_f64 v[14:15], v[16:17], v[14:15]
	v_fma_f64 v[16:17], v[193:194], s[22:23], v[32:33]
	v_add_f64 v[0:1], v[16:17], v[0:1]
	v_fma_f64 v[16:17], v[231:232], s[22:23], -v[76:77]
	v_add_f64 v[14:15], v[16:17], v[14:15]
	v_fma_f64 v[16:17], v[217:218], s[16:17], v[34:35]
	v_add_f64 v[0:1], v[16:17], v[0:1]
	v_fma_f64 v[16:17], v[235:236], s[16:17], -v[46:47]
	;; [unrolled: 4-line block ×3, first 2 shown]
	v_fma_f64 v[16:17], v[199:200], s[16:17], v[78:79]
	v_add_f64 v[146:147], v[0:1], v[14:15]
	v_mul_f64 v[14:15], v[4:5], s[4:5]
	v_fma_f64 v[0:1], v[2:3], s[0:1], v[14:15]
	v_add_f64 v[0:1], v[148:149], v[0:1]
	v_add_f64 v[140:141], v[16:17], v[0:1]
	v_mul_f64 v[16:17], v[8:9], s[4:5]
	v_fma_f64 v[0:1], v[10:11], s[0:1], -v[16:17]
	v_add_f64 v[142:143], v[150:151], v[0:1]
	v_mul_f64 v[0:1], v[221:222], s[18:19]
	v_fma_f64 v[241:242], v[223:224], s[16:17], -v[0:1]
	v_add_f64 v[142:143], v[241:242], v[142:143]
	v_fma_f64 v[241:242], v[193:194], s[20:21], v[215:216]
	v_add_f64 v[140:141], v[241:242], v[140:141]
	v_fma_f64 v[241:242], v[231:232], s[20:21], -v[253:254]
	v_add_f64 v[142:143], v[241:242], v[142:143]
	v_fma_f64 v[241:242], v[217:218], s[22:23], v[247:248]
	v_add_f64 v[140:141], v[241:242], v[140:141]
	v_fma_f64 v[241:242], v[235:236], s[22:23], -v[249:250]
	v_add_f64 v[140:141], v[243:244], v[140:141]
	v_add_f64 v[142:143], v[241:242], v[142:143]
	v_add_f64 v[142:143], v[20:21], v[142:143]
	s_and_saveexec_b32 s33, vcc_lo
	s_cbranch_execz .LBB0_9
; %bb.8:
	v_mul_f64 v[20:21], v[10:11], s[0:1]
	buffer_store_dword v22, off, s[44:47], 0 offset:192 ; 4-byte Folded Spill
	buffer_store_dword v23, off, s[44:47], 0 offset:196 ; 4-byte Folded Spill
	v_mul_f64 v[22:23], v[10:11], s[16:17]
	s_mov_b32 s37, 0x3fe82f19
	s_mov_b32 s36, s18
	v_mov_b32_e32 v170, v227
	buffer_store_dword v24, off, s[44:47], 0 offset:200 ; 4-byte Folded Spill
	buffer_store_dword v25, off, s[44:47], 0 offset:204 ; 4-byte Folded Spill
	v_mov_b32_e32 v171, v228
	v_mov_b32_e32 v228, v27
	buffer_store_dword v28, off, s[44:47], 0 offset:208 ; 4-byte Folded Spill
	buffer_store_dword v29, off, s[44:47], 0 offset:212 ; 4-byte Folded Spill
	;; [unrolled: 1-line block ×4, first 2 shown]
	v_mov_b32_e32 v227, v26
	v_mul_f64 v[30:31], v[4:5], s[18:19]
	v_mov_b32_e32 v244, v240
	v_mov_b32_e32 v155, v33
	;; [unrolled: 1-line block ×8, first 2 shown]
	v_add_f64 v[189:190], v[148:149], v[189:190]
	v_add_f64 v[16:17], v[16:17], v[20:21]
	v_mul_f64 v[20:21], v[10:11], s[6:7]
	v_fma_f64 v[26:27], v[8:9], s[36:37], v[22:23]
	v_fma_f64 v[22:23], v[8:9], s[18:19], v[22:23]
	v_add_f64 v[191:192], v[150:151], v[191:192]
	s_mov_b32 s39, 0x3fed1bb4
	s_mov_b32 s38, s4
	v_mov_b32_e32 v152, v172
	v_mov_b32_e32 v153, v173
	;; [unrolled: 1-line block ×5, first 2 shown]
	v_fma_f64 v[34:35], v[2:3], s[16:17], v[30:31]
	v_fma_f64 v[30:31], v[2:3], s[16:17], -v[30:31]
	v_mul_f64 v[215:216], v[211:212], s[22:23]
	v_mov_b32_e32 v239, v76
	v_mul_f64 v[76:77], v[201:202], s[24:25]
	v_add_f64 v[16:17], v[150:151], v[16:17]
	v_add_f64 v[12:13], v[12:13], v[20:21]
	v_mul_f64 v[20:21], v[2:3], s[6:7]
	v_add_f64 v[26:27], v[150:151], v[26:27]
	v_add_f64 v[22:23], v[150:151], v[22:23]
	;; [unrolled: 1-line block ×4, first 2 shown]
	v_add_f64 v[6:7], v[20:21], -v[6:7]
	v_mul_f64 v[20:21], v[2:3], s[0:1]
	v_add_f64 v[14:15], v[20:21], -v[14:15]
	v_mul_f64 v[20:21], v[10:11], s[20:21]
	v_mul_f64 v[10:11], v[10:11], s[22:23]
	v_add_f64 v[14:15], v[148:149], v[14:15]
	v_fma_f64 v[24:25], v[8:9], s[28:29], v[20:21]
	v_fma_f64 v[20:21], v[8:9], s[26:27], v[20:21]
	v_fma_f64 v[28:29], v[8:9], s[24:25], v[10:11]
	v_fma_f64 v[8:9], v[8:9], s[34:35], v[10:11]
	v_mul_f64 v[10:11], v[4:5], s[26:27]
	v_mul_f64 v[4:5], v[4:5], s[24:25]
	v_add_f64 v[20:21], v[150:151], v[20:21]
	v_add_f64 v[28:29], v[150:151], v[28:29]
	v_fma_f64 v[32:33], v[2:3], s[20:21], v[10:11]
	v_fma_f64 v[156:157], v[2:3], s[22:23], -v[4:5]
	v_fma_f64 v[10:11], v[2:3], s[20:21], -v[10:11]
	v_fma_f64 v[2:3], v[2:3], s[22:23], v[4:5]
	v_add_f64 v[4:5], v[150:151], v[24:25]
	v_add_f64 v[24:25], v[148:149], v[32:33]
	;; [unrolled: 1-line block ×8, first 2 shown]
	v_mul_f64 v[8:9], v[203:204], s[30:31]
	v_mov_b32_e32 v150, v158
	v_mov_b32_e32 v151, v159
	buffer_store_dword v6, off, s[44:47], 0 offset:224 ; 4-byte Folded Spill
	buffer_store_dword v7, off, s[44:47], 0 offset:228 ; 4-byte Folded Spill
	v_mul_f64 v[6:7], v[223:224], s[6:7]
	v_fma_f64 v[2:3], v[221:222], s[14:15], v[6:7]
	v_fma_f64 v[6:7], v[221:222], s[30:31], v[6:7]
	v_add_f64 v[2:3], v[2:3], v[4:5]
	v_fma_f64 v[4:5], v[199:200], s[6:7], v[8:9]
	v_fma_f64 v[8:9], v[199:200], s[6:7], -v[8:9]
	v_add_f64 v[6:7], v[6:7], v[20:21]
	v_fma_f64 v[20:21], v[197:198], s[22:23], -v[76:77]
	v_add_f64 v[4:5], v[4:5], v[24:25]
	v_mul_f64 v[24:25], v[231:232], s[16:17]
	v_add_f64 v[8:9], v[8:9], v[10:11]
	v_fma_f64 v[158:159], v[225:226], s[36:37], v[24:25]
	v_fma_f64 v[10:11], v[225:226], s[18:19], v[24:25]
	v_mul_f64 v[24:25], v[223:224], s[16:17]
	v_add_f64 v[2:3], v[158:159], v[2:3]
	v_mul_f64 v[158:159], v[195:196], s[18:19]
	v_add_f64 v[6:7], v[10:11], v[6:7]
	v_add_f64 v[0:1], v[0:1], v[24:25]
	v_mul_f64 v[24:25], v[199:200], s[16:17]
	v_fma_f64 v[207:208], v[193:194], s[16:17], v[158:159]
	v_fma_f64 v[10:11], v[193:194], s[16:17], -v[158:159]
	v_mul_f64 v[158:159], v[223:224], s[22:23]
	v_add_f64 v[24:25], v[24:25], -v[78:79]
	v_mul_f64 v[78:79], v[199:200], s[0:1]
	v_add_f64 v[0:1], v[0:1], v[16:17]
	v_mul_f64 v[16:17], v[195:196], s[14:15]
	v_add_f64 v[4:5], v[207:208], v[4:5]
	;; [unrolled: 2-line block ×3, first 2 shown]
	v_add_f64 v[14:15], v[24:25], v[14:15]
	s_clause 0x1
	buffer_load_dword v24, off, s[44:47], 0 offset:224
	buffer_load_dword v25, off, s[44:47], 0 offset:228
	v_add_f64 v[78:79], v[78:79], -v[227:228]
	v_fma_f64 v[209:210], v[233:234], s[4:5], v[207:208]
	v_fma_f64 v[10:11], v[233:234], s[38:39], v[207:208]
	v_add_f64 v[34:35], v[78:79], v[34:35]
	v_add_f64 v[2:3], v[209:210], v[2:3]
	v_mul_f64 v[209:210], v[219:220], s[38:39]
	v_add_f64 v[6:7], v[10:11], v[6:7]
	v_fma_f64 v[10:11], v[217:218], s[0:1], -v[209:210]
	v_fma_f64 v[213:214], v[217:218], s[0:1], v[209:210]
	v_add_f64 v[10:11], v[10:11], v[8:9]
	v_fma_f64 v[8:9], v[205:206], s[24:25], v[215:216]
	v_add_f64 v[213:214], v[213:214], v[4:5]
	v_fma_f64 v[4:5], v[205:206], s[34:35], v[215:216]
	v_mul_f64 v[215:216], v[235:236], s[20:21]
	v_add_f64 v[8:9], v[8:9], v[6:7]
	v_add_f64 v[6:7], v[20:21], v[10:11]
	;; [unrolled: 1-line block ×5, first 2 shown]
	v_fma_f64 v[2:3], v[197:198], s[22:23], v[76:77]
	v_mul_f64 v[76:77], v[223:224], s[0:1]
	v_mul_f64 v[164:165], v[223:224], s[20:21]
	v_fma_f64 v[166:167], v[221:222], s[24:25], v[158:159]
	v_fma_f64 v[158:159], v[221:222], s[34:35], v[158:159]
	v_mul_f64 v[191:192], v[203:204], s[34:35]
	v_mul_f64 v[203:204], v[203:204], s[28:29]
	v_fma_f64 v[223:224], v[233:234], s[28:29], v[215:216]
	v_fma_f64 v[215:216], v[233:234], s[26:27], v[215:216]
	v_add_f64 v[20:21], v[20:21], v[170:171]
	v_add_f64 v[10:11], v[10:11], v[168:169]
	v_mul_f64 v[170:171], v[193:194], s[20:21]
	v_mul_f64 v[168:169], v[231:232], s[20:21]
	v_add_f64 v[76:77], v[229:230], v[76:77]
	v_fma_f64 v[189:190], v[221:222], s[28:29], v[164:165]
	v_fma_f64 v[164:165], v[221:222], s[26:27], v[164:165]
	v_add_f64 v[22:23], v[158:159], v[22:23]
	v_fma_f64 v[207:208], v[199:200], s[22:23], v[191:192]
	v_fma_f64 v[191:192], v[199:200], s[22:23], -v[191:192]
	v_fma_f64 v[209:210], v[199:200], s[20:21], -v[203:204]
	v_fma_f64 v[199:200], v[199:200], s[20:21], v[203:204]
	v_mul_f64 v[158:159], v[195:196], s[38:39]
	v_add_f64 v[26:27], v[166:167], v[26:27]
	v_fma_f64 v[166:167], v[193:194], s[6:7], v[16:17]
	v_fma_f64 v[16:17], v[193:194], s[6:7], -v[16:17]
	v_mul_f64 v[203:204], v[235:236], s[16:17]
	v_add_f64 v[2:3], v[2:3], v[213:214]
	v_mul_f64 v[213:214], v[217:218], s[16:17]
	v_mul_f64 v[221:222], v[235:236], s[6:7]
	v_add_f64 v[20:21], v[20:21], v[176:177]
	v_add_f64 v[10:11], v[10:11], v[178:179]
	v_mul_f64 v[176:177], v[231:232], s[22:23]
	v_add_f64 v[170:171], v[170:171], -v[172:173]
	v_add_f64 v[12:13], v[76:77], v[12:13]
	v_add_f64 v[28:29], v[189:190], v[28:29]
	;; [unrolled: 1-line block ×3, first 2 shown]
	v_mul_f64 v[172:173], v[219:220], s[14:15]
	v_add_f64 v[168:169], v[253:254], v[168:169]
	v_add_f64 v[30:31], v[191:192], v[30:31]
	v_mul_f64 v[178:179], v[193:194], s[22:23]
	v_add_f64 v[78:79], v[199:200], v[148:149]
	v_fma_f64 v[189:190], v[193:194], s[0:1], -v[158:159]
	v_fma_f64 v[158:159], v[193:194], s[0:1], v[158:159]
	v_mul_f64 v[148:149], v[197:198], s[6:7]
	v_add_f64 v[32:33], v[207:208], v[32:33]
	v_add_f64 v[203:204], v[46:47], v[203:204]
	v_add_f64 v[213:214], v[213:214], -v[237:238]
	v_add_f64 v[20:21], v[20:21], v[180:181]
	v_add_f64 v[10:11], v[10:11], v[185:186]
	;; [unrolled: 1-line block ×4, first 2 shown]
	v_mul_f64 v[185:186], v[235:236], s[22:23]
	v_mov_b32_e32 v237, v241
	v_mov_b32_e32 v238, v242
	v_fma_f64 v[227:228], v[217:218], s[6:7], -v[172:173]
	v_add_f64 v[0:1], v[168:169], v[0:1]
	v_add_f64 v[16:17], v[16:17], v[30:31]
	v_add_f64 v[178:179], v[178:179], -v[154:155]
	v_mul_f64 v[154:155], v[231:232], s[6:7]
	v_fma_f64 v[172:173], v[217:218], s[6:7], v[172:173]
	v_mov_b32_e32 v239, v243
	v_add_f64 v[148:149], v[148:149], -v[150:151]
	v_mul_f64 v[150:151], v[211:212], s[16:17]
	v_add_f64 v[32:33], v[166:167], v[32:33]
	v_mov_b32_e32 v240, v244
	v_add_f64 v[20:21], v[20:21], v[182:183]
	v_add_f64 v[10:11], v[10:11], v[187:188]
	;; [unrolled: 1-line block ×3, first 2 shown]
	v_mul_f64 v[187:188], v[217:218], s[22:23]
	v_add_f64 v[185:186], v[249:250], v[185:186]
	v_add_f64 v[34:35], v[178:179], v[34:35]
	v_fma_f64 v[180:181], v[225:226], s[30:31], v[154:155]
	v_fma_f64 v[154:155], v[225:226], s[14:15], v[154:155]
	;; [unrolled: 1-line block ×3, first 2 shown]
	v_add_f64 v[20:21], v[20:21], v[44:45]
	s_clause 0x1
	buffer_load_dword v44, off, s[44:47], 0 offset:216
	buffer_load_dword v45, off, s[44:47], 0 offset:220
	v_add_f64 v[10:11], v[10:11], v[174:175]
	v_mul_f64 v[174:175], v[231:232], s[0:1]
	v_add_f64 v[156:157], v[203:204], v[12:13]
	v_mul_f64 v[12:13], v[197:198], s[20:21]
	v_add_f64 v[187:188], v[187:188], -v[247:248]
	v_add_f64 v[0:1], v[185:186], v[0:1]
	v_add_f64 v[34:35], v[213:214], v[34:35]
	v_add_f64 v[26:27], v[180:181], v[26:27]
	v_add_f64 v[22:23], v[154:155], v[22:23]
	v_add_f64 v[20:21], v[20:21], v[251:252]
	v_add_f64 v[10:11], v[10:11], v[152:153]
	v_fma_f64 v[182:183], v[225:226], s[38:39], v[174:175]
	v_fma_f64 v[174:175], v[225:226], s[4:5], v[174:175]
	v_mul_f64 v[152:153], v[219:220], s[26:27]
	v_fma_f64 v[225:226], v[233:234], s[14:15], v[221:222]
	v_fma_f64 v[221:222], v[233:234], s[30:31], v[221:222]
	v_add_f64 v[14:15], v[187:188], v[14:15]
	v_add_f64 v[26:27], v[223:224], v[26:27]
	;; [unrolled: 1-line block ×8, first 2 shown]
	v_mul_f64 v[78:79], v[211:212], s[20:21]
	v_fma_f64 v[219:220], v[217:218], s[20:21], v[152:153]
	v_fma_f64 v[152:153], v[217:218], s[20:21], -v[152:153]
	v_mul_f64 v[217:218], v[211:212], s[6:7]
	v_add_f64 v[28:29], v[225:226], v[28:29]
	v_add_f64 v[30:31], v[221:222], v[30:31]
	;; [unrolled: 1-line block ×5, first 2 shown]
	v_fma_f64 v[152:153], v[205:206], s[18:19], v[150:151]
	v_mul_f64 v[150:151], v[201:202], s[18:19]
	v_add_f64 v[217:218], v[245:246], v[217:218]
	v_add_f64 v[166:167], v[166:167], v[30:31]
	v_fma_f64 v[174:175], v[197:198], s[16:17], -v[150:151]
	s_waitcnt vmcnt(2)
	v_add_f64 v[24:25], v[209:210], v[24:25]
	v_fma_f64 v[176:177], v[197:198], s[16:17], v[150:151]
	v_add_f64 v[150:151], v[152:153], v[28:29]
	v_add_f64 v[154:155], v[217:218], v[0:1]
	;; [unrolled: 1-line block ×6, first 2 shown]
	s_waitcnt vmcnt(0)
	v_add_f64 v[78:79], v[44:45], v[78:79]
	s_clause 0x1
	buffer_load_dword v44, off, s[44:47], 0 offset:208
	buffer_load_dword v45, off, s[44:47], 0 offset:212
	v_add_f64 v[158:159], v[78:79], v[156:157]
	s_waitcnt vmcnt(0)
	v_add_f64 v[160:161], v[12:13], -v[44:45]
	v_mul_f64 v[12:13], v[211:212], s[0:1]
	v_add_f64 v[156:157], v[160:161], v[34:35]
	v_fma_f64 v[164:165], v[205:206], s[4:5], v[12:13]
	v_fma_f64 v[16:17], v[205:206], s[38:39], v[12:13]
	v_mul_f64 v[12:13], v[201:202], s[38:39]
	v_add_f64 v[16:17], v[16:17], v[22:23]
	v_fma_f64 v[168:169], v[197:198], s[0:1], v[12:13]
	v_fma_f64 v[170:171], v[197:198], s[0:1], -v[12:13]
	s_clause 0x1
	buffer_load_dword v12, off, s[44:47], 0 offset:200
	buffer_load_dword v13, off, s[44:47], 0 offset:204
	v_add_f64 v[160:161], v[168:169], v[32:33]
	v_add_f64 v[14:15], v[170:171], v[162:163]
	;; [unrolled: 1-line block ×4, first 2 shown]
	s_waitcnt vmcnt(0)
	v_add_f64 v[12:13], v[10:11], v[12:13]
	s_clause 0x1
	buffer_load_dword v10, off, s[44:47], 0 offset:192
	buffer_load_dword v11, off, s[44:47], 0 offset:196
	s_waitcnt vmcnt(0)
	v_add_f64 v[10:11], v[20:21], v[10:11]
	ds_write_b128 v19, v[10:13]
	ds_write_b128 v19, v[156:159] offset:1584
	ds_write_b128 v19, v[152:155] offset:3168
	;; [unrolled: 1-line block ×10, first 2 shown]
.LBB0_9:
	s_or_b32 exec_lo, exec_lo, s33
	v_lshlrev_b32_e32 v0, 4, v18
	s_waitcnt lgkmcnt(0)
	s_waitcnt_vscnt null, 0x0
	s_barrier
	buffer_gl0_inv
	s_mov_b32 s5, 0x3febb67a
	v_add_co_u32 v22, s0, s12, v0
	v_add_co_ci_u32_e64 v23, null, s13, 0, s0
	v_add_co_u32 v12, s0, 0x4410, v22
	v_add_co_ci_u32_e64 v13, s0, 0, v23, s0
	v_add_co_u32 v8, s0, 0x4000, v22
	v_add_co_ci_u32_e64 v9, s0, 0, v23, s0
	;; [unrolled: 2-line block ×6, first 2 shown]
	s_clause 0x5
	global_load_dwordx4 v[0:3], v[0:1], off offset:704
	global_load_dwordx4 v[4:7], v[4:5], off offset:368
	;; [unrolled: 1-line block ×6, first 2 shown]
	v_add_co_u32 v16, s0, 0x5000, v22
	v_add_co_ci_u32_e64 v17, s0, 0, v23, s0
	v_add_co_u32 v20, s0, 0x6800, v22
	v_add_co_ci_u32_e64 v21, s0, 0, v23, s0
	;; [unrolled: 2-line block ×3, first 2 shown]
	s_clause 0x2
	global_load_dwordx4 v[156:159], v[16:17], off offset:816
	global_load_dwordx4 v[160:163], v[20:21], off offset:480
	;; [unrolled: 1-line block ×3, first 2 shown]
	ds_read_b128 v[168:171], v19
	ds_read_b128 v[172:175], v19 offset:5808
	ds_read_b128 v[176:179], v19 offset:11616
	;; [unrolled: 1-line block ×8, first 2 shown]
	s_mov_b32 s0, 0xe8584caa
	s_mov_b32 s1, 0xbfebb67a
	;; [unrolled: 1-line block ×3, first 2 shown]
	s_waitcnt vmcnt(8) lgkmcnt(7)
	v_mul_f64 v[20:21], v[174:175], v[2:3]
	v_mul_f64 v[2:3], v[172:173], v[2:3]
	s_waitcnt vmcnt(6)
	v_mul_f64 v[16:17], v[170:171], v[10:11]
	v_mul_f64 v[10:11], v[168:169], v[10:11]
	s_waitcnt lgkmcnt(6)
	v_mul_f64 v[22:23], v[178:179], v[6:7]
	v_mul_f64 v[24:25], v[176:177], v[6:7]
	s_waitcnt vmcnt(5) lgkmcnt(5)
	v_mul_f64 v[26:27], v[182:183], v[14:15]
	v_mul_f64 v[28:29], v[180:181], v[14:15]
	s_waitcnt vmcnt(4) lgkmcnt(4)
	;; [unrolled: 3-line block ×6, first 2 shown]
	v_mul_f64 v[205:206], v[203:204], v[166:167]
	v_mul_f64 v[207:208], v[201:202], v[166:167]
	v_fma_f64 v[14:15], v[172:173], v[0:1], -v[20:21]
	v_fma_f64 v[6:7], v[168:169], v[8:9], -v[16:17]
	v_fma_f64 v[8:9], v[170:171], v[8:9], v[10:11]
	v_fma_f64 v[16:17], v[174:175], v[0:1], v[2:3]
	v_fma_f64 v[0:1], v[176:177], v[4:5], -v[22:23]
	v_fma_f64 v[2:3], v[178:179], v[4:5], v[24:25]
	v_fma_f64 v[10:11], v[180:181], v[12:13], -v[26:27]
	v_fma_f64 v[12:13], v[182:183], v[12:13], v[28:29]
	v_fma_f64 v[166:167], v[185:186], v[148:149], -v[30:31]
	v_fma_f64 v[168:169], v[187:188], v[148:149], v[32:33]
	v_fma_f64 v[148:149], v[189:190], v[152:153], -v[34:35]
	v_fma_f64 v[150:151], v[191:192], v[152:153], v[76:77]
	v_fma_f64 v[152:153], v[193:194], v[156:157], -v[78:79]
	v_fma_f64 v[154:155], v[195:196], v[156:157], v[154:155]
	v_fma_f64 v[156:157], v[197:198], v[160:161], -v[158:159]
	v_fma_f64 v[158:159], v[199:200], v[160:161], v[162:163]
	v_fma_f64 v[160:161], v[201:202], v[164:165], -v[205:206]
	v_fma_f64 v[162:163], v[203:204], v[164:165], v[207:208]
	ds_write_b128 v19, v[6:9]
	ds_write_b128 v19, v[14:17] offset:5808
	ds_write_b128 v19, v[0:3] offset:11616
	;; [unrolled: 1-line block ×8, first 2 shown]
	s_waitcnt lgkmcnt(0)
	s_barrier
	buffer_gl0_inv
	ds_read_b128 v[0:3], v19 offset:5808
	ds_read_b128 v[4:7], v19 offset:11616
	;; [unrolled: 1-line block ×6, first 2 shown]
	ds_read_b128 v[156:159], v19
	ds_read_b128 v[160:163], v19 offset:1936
	ds_read_b128 v[164:167], v19 offset:3872
	s_waitcnt lgkmcnt(0)
	s_barrier
	buffer_gl0_inv
	v_add_f64 v[20:21], v[2:3], v[6:7]
	v_add_f64 v[16:17], v[0:1], v[4:5]
	;; [unrolled: 1-line block ×3, first 2 shown]
	v_add_f64 v[32:33], v[2:3], -v[6:7]
	v_add_f64 v[26:27], v[148:149], v[152:153]
	v_add_f64 v[30:31], v[156:157], v[0:1]
	v_add_f64 v[0:1], v[0:1], -v[4:5]
	v_add_f64 v[2:3], v[158:159], v[2:3]
	v_add_f64 v[28:29], v[150:151], v[154:155]
	;; [unrolled: 1-line block ×5, first 2 shown]
	v_add_f64 v[174:175], v[148:149], -v[152:153]
	v_add_f64 v[22:23], v[12:13], v[8:9]
	v_add_f64 v[34:35], v[160:161], v[12:13]
	v_add_f64 v[14:15], v[14:15], -v[10:11]
	v_add_f64 v[12:13], v[12:13], -v[8:9]
	v_fma_f64 v[20:21], v[20:21], -0.5, v[158:159]
	v_fma_f64 v[16:17], v[16:17], -0.5, v[156:157]
	;; [unrolled: 1-line block ×3, first 2 shown]
	v_add_f64 v[162:163], v[150:151], -v[154:155]
	v_fma_f64 v[26:27], v[26:27], -0.5, v[164:165]
	v_add_f64 v[148:149], v[30:31], v[4:5]
	v_add_f64 v[150:151], v[2:3], v[6:7]
	v_fma_f64 v[28:29], v[28:29], -0.5, v[166:167]
	v_add_f64 v[170:171], v[76:77], v[10:11]
	v_add_f64 v[152:153], v[78:79], v[152:153]
	;; [unrolled: 1-line block ×3, first 2 shown]
	v_fma_f64 v[22:23], v[22:23], -0.5, v[160:161]
	v_add_f64 v[168:169], v[34:35], v[8:9]
	v_fma_f64 v[182:183], v[0:1], s[4:5], v[20:21]
	v_fma_f64 v[178:179], v[0:1], s[0:1], v[20:21]
	buffer_load_dword v0, off, s[44:47], 0 offset:168 ; 4-byte Folded Reload
	v_fma_f64 v[180:181], v[32:33], s[0:1], v[16:17]
	v_fma_f64 v[176:177], v[32:33], s[4:5], v[16:17]
	;; [unrolled: 1-line block ×8, first 2 shown]
	s_waitcnt vmcnt(0)
	ds_write_b128 v0, v[148:151]
	ds_write_b128 v0, v[180:183] offset:16
	ds_write_b128 v0, v[176:179] offset:32
	buffer_load_dword v0, off, s[44:47], 0 offset:164 ; 4-byte Folded Reload
	v_fma_f64 v[164:165], v[14:15], s[0:1], v[22:23]
	v_fma_f64 v[156:157], v[14:15], s[4:5], v[22:23]
	s_waitcnt vmcnt(0)
	ds_write_b128 v0, v[168:171]
	ds_write_b128 v0, v[164:167] offset:16
	ds_write_b128 v0, v[156:159] offset:32
	buffer_load_dword v0, off, s[44:47], 0 offset:160 ; 4-byte Folded Reload
	s_waitcnt vmcnt(0)
	ds_write_b128 v0, v[152:155]
	ds_write_b128 v0, v[160:163] offset:16
	ds_write_b128 v0, v[172:175] offset:32
	s_waitcnt lgkmcnt(0)
	s_barrier
	buffer_gl0_inv
	s_and_saveexec_b32 s0, vcc_lo
	s_cbranch_execz .LBB0_11
; %bb.10:
	ds_read_b128 v[148:151], v19
	ds_read_b128 v[180:183], v19 offset:1584
	ds_read_b128 v[176:179], v19 offset:3168
	;; [unrolled: 1-line block ×10, first 2 shown]
.LBB0_11:
	s_or_b32 exec_lo, exec_lo, s0
	s_waitcnt lgkmcnt(9)
	v_mul_f64 v[0:1], v[62:63], v[180:181]
	s_waitcnt lgkmcnt(1)
	v_mul_f64 v[2:3], v[66:67], v[142:143]
	v_mul_f64 v[4:5], v[54:55], v[172:173]
	;; [unrolled: 1-line block ×4, first 2 shown]
	s_mov_b32 s0, 0xf8bb580b
	s_mov_b32 s1, 0xbfe14ced
	v_mul_f64 v[10:11], v[42:43], v[158:159]
	v_mul_f64 v[12:13], v[42:43], v[156:157]
	s_mov_b32 s12, 0xd9c712b6
	s_mov_b32 s5, 0xbfed1bb4
	;; [unrolled: 1-line block ×4, first 2 shown]
	v_mul_f64 v[14:15], v[38:39], v[152:153]
	s_mov_b32 s28, 0x43842ef
	s_mov_b32 s29, 0xbfefac9e
	;; [unrolled: 1-line block ×8, first 2 shown]
	v_fma_f64 v[185:186], v[60:61], v[182:183], -v[0:1]
	v_mul_f64 v[0:1], v[62:63], v[182:183]
	v_fma_f64 v[54:55], v[52:53], v[174:175], -v[4:5]
	s_mov_b32 s26, 0xfd768dbf
	s_mov_b32 s27, 0x3fd207e7
	;; [unrolled: 1-line block ×8, first 2 shown]
	s_waitcnt lgkmcnt(0)
	s_barrier
	buffer_gl0_inv
	v_fma_f64 v[180:181], v[60:61], v[180:181], v[0:1]
	v_mul_f64 v[0:1], v[74:75], v[144:145]
	v_fma_f64 v[60:61], v[72:73], v[146:147], -v[0:1]
	v_mul_f64 v[0:1], v[74:75], v[146:147]
	v_add_f64 v[203:204], v[185:186], -v[60:61]
	v_fma_f64 v[62:63], v[72:73], v[144:145], v[0:1]
	v_mul_f64 v[0:1], v[70:71], v[176:177]
	v_mul_f64 v[4:5], v[203:204], s[0:1]
	v_add_f64 v[207:208], v[180:181], v[62:63]
	v_fma_f64 v[72:73], v[68:69], v[178:179], -v[0:1]
	v_mul_f64 v[0:1], v[70:71], v[178:179]
	v_fma_f64 v[70:71], v[237:238], v[162:163], -v[8:9]
	v_fma_f64 v[68:69], v[68:69], v[176:177], v[0:1]
	v_mul_f64 v[0:1], v[66:67], v[140:141]
	v_fma_f64 v[66:67], v[64:65], v[142:143], -v[0:1]
	v_fma_f64 v[64:65], v[64:65], v[140:141], v[2:3]
	v_mul_f64 v[0:1], v[58:59], v[168:169]
	v_mul_f64 v[2:3], v[58:59], v[170:171]
	v_fma_f64 v[142:143], v[40:41], v[158:159], -v[12:13]
	v_fma_f64 v[140:141], v[40:41], v[156:157], v[10:11]
	v_fma_f64 v[10:11], v[207:208], s[6:7], -v[4:5]
	v_add_f64 v[46:47], v[72:73], -v[66:67]
	v_add_f64 v[74:75], v[68:69], v[64:65]
	v_fma_f64 v[58:59], v[56:57], v[170:171], -v[0:1]
	v_fma_f64 v[56:57], v[56:57], v[168:169], v[2:3]
	v_mul_f64 v[0:1], v[50:51], v[164:165]
	v_mul_f64 v[2:3], v[50:51], v[166:167]
	v_fma_f64 v[50:51], v[52:53], v[172:173], v[6:7]
	v_mul_f64 v[6:7], v[239:240], v[162:163]
	v_add_f64 v[170:171], v[68:69], -v[64:65]
	v_add_f64 v[10:11], v[148:149], v[10:11]
	v_mul_f64 v[189:190], v[46:47], s[4:5]
	v_mul_f64 v[205:206], v[46:47], s[16:17]
	v_add_f64 v[146:147], v[58:59], -v[54:55]
	v_add_f64 v[172:173], v[58:59], v[54:55]
	v_fma_f64 v[52:53], v[48:49], v[166:167], -v[0:1]
	v_fma_f64 v[48:49], v[48:49], v[164:165], v[2:3]
	v_add_f64 v[2:3], v[185:186], v[60:61]
	v_fma_f64 v[44:45], v[237:238], v[160:161], v[6:7]
	v_add_f64 v[6:7], v[180:181], -v[62:63]
	v_add_f64 v[166:167], v[72:73], v[66:67]
	v_mul_f64 v[0:1], v[38:39], v[154:155]
	v_fma_f64 v[164:165], v[36:37], v[154:155], -v[14:15]
	v_add_f64 v[144:145], v[56:57], v[50:51]
	v_add_f64 v[174:175], v[56:57], -v[50:51]
	v_mul_f64 v[193:194], v[146:147], s[28:29]
	v_mul_f64 v[209:210], v[172:173], s[18:19]
	v_add_f64 v[158:159], v[52:53], -v[70:71]
	v_add_f64 v[178:179], v[52:53], v[70:71]
	v_mul_f64 v[8:9], v[2:3], s[6:7]
	v_add_f64 v[156:157], v[48:49], v[44:45]
	v_add_f64 v[187:188], v[48:49], -v[44:45]
	v_mul_f64 v[191:192], v[166:167], s[12:13]
	v_fma_f64 v[162:163], v[36:37], v[152:153], v[0:1]
	v_fma_f64 v[0:1], v[74:75], s[12:13], -v[189:190]
	v_add_f64 v[154:155], v[142:143], -v[164:165]
	v_add_f64 v[160:161], v[142:143], v[164:165]
	v_mul_f64 v[213:214], v[166:167], s[14:15]
	v_mul_f64 v[195:196], v[146:147], s[26:27]
	;; [unrolled: 1-line block ×5, first 2 shown]
	v_fma_f64 v[12:13], v[6:7], s[0:1], v[8:9]
	v_mul_f64 v[197:198], v[158:159], s[30:31]
	v_mul_f64 v[201:202], v[178:179], s[18:19]
	v_fma_f64 v[14:15], v[170:171], s[4:5], v[191:192]
	v_add_f64 v[152:153], v[140:141], v[162:163]
	v_add_f64 v[0:1], v[0:1], v[10:11]
	v_mul_f64 v[215:216], v[154:155], s[22:23]
	v_add_f64 v[168:169], v[140:141], -v[162:163]
	v_fma_f64 v[20:21], v[170:171], s[16:17], v[213:214]
	v_mul_f64 v[176:177], v[154:155], s[24:25]
	v_mul_f64 v[182:183], v[160:161], s[6:7]
	v_add_f64 v[12:13], v[150:151], v[12:13]
	v_add_f64 v[10:11], v[14:15], v[12:13]
	v_fma_f64 v[12:13], v[144:145], s[18:19], -v[193:194]
	v_fma_f64 v[14:15], v[74:75], s[14:15], -v[205:206]
	v_add_f64 v[0:1], v[12:13], v[0:1]
	v_fma_f64 v[12:13], v[174:175], s[28:29], v[209:210]
	v_add_f64 v[10:11], v[12:13], v[10:11]
	v_fma_f64 v[12:13], v[156:157], s[14:15], -v[211:212]
	v_add_f64 v[0:1], v[12:13], v[0:1]
	v_fma_f64 v[12:13], v[187:188], s[16:17], v[217:218]
	v_add_f64 v[10:11], v[12:13], v[10:11]
	v_fma_f64 v[12:13], v[152:153], s[20:21], -v[215:216]
	v_add_f64 v[36:37], v[12:13], v[0:1]
	v_mul_f64 v[0:1], v[160:161], s[20:21]
	v_fma_f64 v[12:13], v[168:169], s[22:23], v[0:1]
	v_add_f64 v[38:39], v[12:13], v[10:11]
	v_mul_f64 v[10:11], v[203:204], s[4:5]
	v_fma_f64 v[12:13], v[207:208], s[12:13], -v[10:11]
	v_add_f64 v[12:13], v[148:149], v[12:13]
	v_add_f64 v[14:15], v[14:15], v[12:13]
	v_mul_f64 v[12:13], v[2:3], s[12:13]
	v_fma_f64 v[16:17], v[6:7], s[4:5], v[12:13]
	v_add_f64 v[16:17], v[150:151], v[16:17]
	v_add_f64 v[16:17], v[20:21], v[16:17]
	v_fma_f64 v[20:21], v[144:145], s[20:21], -v[195:196]
	v_add_f64 v[14:15], v[20:21], v[14:15]
	v_fma_f64 v[20:21], v[174:175], s[26:27], v[199:200]
	v_add_f64 v[16:17], v[20:21], v[16:17]
	v_fma_f64 v[20:21], v[156:157], s[18:19], -v[197:198]
	v_add_f64 v[14:15], v[20:21], v[14:15]
	v_fma_f64 v[20:21], v[187:188], s[30:31], v[201:202]
	;; [unrolled: 4-line block ×3, first 2 shown]
	v_add_f64 v[42:43], v[14:15], v[16:17]
	s_and_saveexec_b32 s33, vcc_lo
	s_cbranch_execz .LBB0_13
; %bb.12:
	v_mul_f64 v[14:15], v[6:7], s[4:5]
	v_mul_f64 v[16:17], v[6:7], s[16:17]
	v_add_f64 v[78:79], v[148:149], v[180:181]
	v_add_f64 v[76:77], v[150:151], v[185:186]
	v_mul_f64 v[26:27], v[203:204], s[16:17]
	v_mul_f64 v[28:29], v[203:204], s[28:29]
	;; [unrolled: 1-line block ×4, first 2 shown]
	v_add_f64 v[12:13], v[12:13], -v[14:15]
	v_mul_f64 v[14:15], v[6:7], s[0:1]
	v_fma_f64 v[22:23], v[2:3], s[14:15], v[16:17]
	v_fma_f64 v[16:17], v[2:3], s[14:15], -v[16:17]
	v_fma_f64 v[32:33], v[207:208], s[14:15], -v[26:27]
	v_fma_f64 v[26:27], v[207:208], s[14:15], v[26:27]
	v_fma_f64 v[34:35], v[207:208], s[18:19], v[28:29]
	v_fma_f64 v[28:29], v[207:208], s[18:19], -v[28:29]
	v_add_f64 v[72:73], v[76:77], v[72:73]
	v_add_f64 v[68:69], v[78:79], v[68:69]
	v_mul_f64 v[76:77], v[170:171], s[16:17]
	v_add_f64 v[12:13], v[150:151], v[12:13]
	v_add_f64 v[8:9], v[8:9], -v[14:15]
	v_mul_f64 v[14:15], v[207:208], s[6:7]
	v_add_f64 v[22:23], v[150:151], v[22:23]
	v_add_f64 v[16:17], v[150:151], v[16:17]
	;; [unrolled: 1-line block ×8, first 2 shown]
	v_add_f64 v[76:77], v[213:214], -v[76:77]
	v_mul_f64 v[68:69], v[74:75], s[14:15]
	v_add_f64 v[180:181], v[150:151], v[8:9]
	v_add_f64 v[4:5], v[14:15], v[4:5]
	v_mul_f64 v[14:15], v[207:208], s[12:13]
	v_mul_f64 v[8:9], v[170:171], s[24:25]
	v_add_f64 v[52:53], v[58:59], v[52:53]
	v_add_f64 v[48:49], v[56:57], v[48:49]
	v_mul_f64 v[56:57], v[170:171], s[30:31]
	v_mul_f64 v[58:59], v[170:171], s[26:27]
	v_add_f64 v[12:13], v[76:77], v[12:13]
	v_add_f64 v[68:69], v[68:69], v[205:206]
	;; [unrolled: 1-line block ×4, first 2 shown]
	v_mul_f64 v[14:15], v[6:7], s[22:23]
	v_mul_f64 v[6:7], v[6:7], s[28:29]
	v_add_f64 v[52:53], v[52:53], v[142:143]
	v_add_f64 v[48:49], v[48:49], v[140:141]
	v_mul_f64 v[140:141], v[46:47], s[30:31]
	v_fma_f64 v[72:73], v[166:167], s[18:19], v[56:57]
	v_fma_f64 v[56:57], v[166:167], s[18:19], -v[56:57]
	v_fma_f64 v[78:79], v[166:167], s[20:21], -v[58:59]
	v_fma_f64 v[58:59], v[166:167], s[20:21], v[58:59]
	v_add_f64 v[10:11], v[148:149], v[10:11]
	v_fma_f64 v[20:21], v[2:3], s[20:21], v[14:15]
	v_fma_f64 v[14:15], v[2:3], s[20:21], -v[14:15]
	v_fma_f64 v[24:25], v[2:3], s[18:19], -v[6:7]
	v_fma_f64 v[2:3], v[2:3], s[18:19], v[6:7]
	v_mul_f64 v[6:7], v[203:204], s[22:23]
	v_add_f64 v[52:53], v[52:53], v[164:165]
	v_add_f64 v[48:49], v[48:49], v[162:163]
	v_fma_f64 v[142:143], v[74:75], s[18:19], -v[140:141]
	v_fma_f64 v[140:141], v[74:75], s[18:19], v[140:141]
	v_add_f64 v[16:17], v[56:57], v[16:17]
	v_add_f64 v[22:23], v[72:73], v[22:23]
	v_mul_f64 v[164:165], v[187:188], s[22:23]
	v_mul_f64 v[162:163], v[156:157], s[18:19]
	v_add_f64 v[10:11], v[68:69], v[10:11]
	v_add_f64 v[20:21], v[150:151], v[20:21]
	;; [unrolled: 1-line block ×5, first 2 shown]
	v_fma_f64 v[2:3], v[166:167], s[6:7], v[8:9]
	v_fma_f64 v[30:31], v[207:208], s[20:21], -v[6:7]
	v_fma_f64 v[6:7], v[207:208], s[20:21], v[6:7]
	v_fma_f64 v[8:9], v[166:167], s[6:7], -v[8:9]
	v_add_f64 v[52:53], v[52:53], v[70:71]
	v_add_f64 v[44:45], v[48:49], v[44:45]
	v_mul_f64 v[70:71], v[187:188], s[30:31]
	v_add_f64 v[32:33], v[142:143], v[32:33]
	v_add_f64 v[26:27], v[140:141], v[26:27]
	v_mul_f64 v[48:49], v[144:145], s[20:21]
	v_add_f64 v[162:163], v[162:163], v[197:198]
	v_add_f64 v[24:25], v[78:79], v[24:25]
	;; [unrolled: 1-line block ×4, first 2 shown]
	v_mul_f64 v[20:21], v[46:47], s[24:25]
	v_add_f64 v[30:31], v[148:149], v[30:31]
	v_add_f64 v[6:7], v[148:149], v[6:7]
	;; [unrolled: 1-line block ×3, first 2 shown]
	v_mul_f64 v[46:47], v[46:47], s[26:27]
	v_add_f64 v[44:45], v[44:45], v[50:51]
	v_mul_f64 v[50:51], v[146:147], s[0:1]
	v_add_f64 v[70:71], v[201:202], -v[70:71]
	v_add_f64 v[48:49], v[48:49], v[195:196]
	v_fma_f64 v[4:5], v[74:75], s[6:7], -v[20:21]
	v_fma_f64 v[14:15], v[74:75], s[6:7], v[20:21]
	v_fma_f64 v[20:21], v[152:153], s[18:19], v[225:226]
	;; [unrolled: 1-line block ×3, first 2 shown]
	v_fma_f64 v[46:47], v[74:75], s[20:21], -v[46:47]
	v_add_f64 v[44:45], v[44:45], v[64:65]
	v_add_f64 v[10:11], v[48:49], v[10:11]
	v_add_f64 v[4:5], v[4:5], v[30:31]
	v_mul_f64 v[30:31], v[174:175], s[16:17]
	v_add_f64 v[6:7], v[14:15], v[6:7]
	v_add_f64 v[34:35], v[166:167], v[34:35]
	;; [unrolled: 1-line block ×3, first 2 shown]
	v_mul_f64 v[46:47], v[158:159], s[22:23]
	v_add_f64 v[68:69], v[162:163], v[10:11]
	v_fma_f64 v[148:149], v[172:173], s[14:15], v[30:31]
	v_fma_f64 v[14:15], v[172:173], s[14:15], -v[30:31]
	v_mul_f64 v[30:31], v[174:175], s[28:29]
	v_fma_f64 v[64:65], v[156:157], s[20:21], -v[46:47]
	v_fma_f64 v[46:47], v[156:157], s[20:21], v[46:47]
	v_add_f64 v[2:3], v[148:149], v[2:3]
	v_mul_f64 v[148:149], v[146:147], s[16:17]
	v_add_f64 v[8:9], v[14:15], v[8:9]
	v_add_f64 v[30:31], v[209:210], -v[30:31]
	v_fma_f64 v[203:204], v[144:145], s[14:15], -v[148:149]
	v_fma_f64 v[14:15], v[144:145], s[14:15], v[148:149]
	v_mul_f64 v[148:149], v[144:145], s[18:19]
	v_add_f64 v[4:5], v[203:204], v[4:5]
	v_mul_f64 v[203:204], v[170:171], s[4:5]
	s_mov_b32 s5, 0x3fed1bb4
	v_add_f64 v[6:7], v[14:15], v[6:7]
	v_mul_f64 v[207:208], v[187:188], s[4:5]
	v_add_f64 v[148:149], v[148:149], v[193:194]
	v_mul_f64 v[193:194], v[168:169], s[22:23]
	v_mul_f64 v[170:171], v[187:188], s[0:1]
	;; [unrolled: 1-line block ×3, first 2 shown]
	v_fma_f64 v[219:220], v[178:179], s[12:13], v[207:208]
	v_fma_f64 v[14:15], v[178:179], s[12:13], -v[207:208]
	v_add_f64 v[0:1], v[0:1], -v[193:194]
	v_mul_f64 v[193:194], v[152:153], s[20:21]
	v_add_f64 v[2:3], v[219:220], v[2:3]
	v_mul_f64 v[219:220], v[158:159], s[4:5]
	v_add_f64 v[8:9], v[14:15], v[8:9]
	v_add_f64 v[193:194], v[193:194], v[215:216]
	v_fma_f64 v[14:15], v[156:157], s[12:13], v[219:220]
	v_fma_f64 v[221:222], v[156:157], s[12:13], -v[219:220]
	v_add_f64 v[6:7], v[14:15], v[6:7]
	v_fma_f64 v[14:15], v[160:161], s[18:19], -v[223:224]
	v_add_f64 v[221:222], v[221:222], v[4:5]
	v_fma_f64 v[4:5], v[160:161], s[18:19], v[223:224]
	v_add_f64 v[6:7], v[20:21], v[6:7]
	v_add_f64 v[8:9], v[14:15], v[8:9]
	v_add_f64 v[14:15], v[191:192], -v[203:204]
	v_mul_f64 v[20:21], v[74:75], s[12:13]
	v_mul_f64 v[74:75], v[174:175], s[26:27]
	;; [unrolled: 1-line block ×3, first 2 shown]
	v_add_f64 v[4:5], v[4:5], v[2:3]
	v_fma_f64 v[2:3], v[152:153], s[18:19], -v[225:226]
	v_add_f64 v[14:15], v[14:15], v[180:181]
	v_add_f64 v[20:21], v[20:21], v[189:190]
	v_add_f64 v[74:75], v[199:200], -v[74:75]
	v_mul_f64 v[189:190], v[187:188], s[16:17]
	v_fma_f64 v[180:181], v[178:179], s[20:21], v[164:165]
	v_fma_f64 v[164:165], v[178:179], s[20:21], -v[164:165]
	v_add_f64 v[191:192], v[191:192], v[211:212]
	v_add_f64 v[2:3], v[2:3], v[221:222]
	;; [unrolled: 1-line block ×4, first 2 shown]
	v_mul_f64 v[52:53], v[146:147], s[4:5]
	v_fma_f64 v[54:55], v[144:145], s[6:7], -v[50:51]
	v_add_f64 v[12:13], v[74:75], v[12:13]
	v_add_f64 v[189:190], v[217:218], -v[189:190]
	v_add_f64 v[20:21], v[20:21], v[185:186]
	v_fma_f64 v[185:186], v[178:179], s[6:7], -v[170:171]
	v_fma_f64 v[170:171], v[178:179], s[6:7], v[170:171]
	v_mul_f64 v[178:179], v[174:175], s[0:1]
	v_mul_f64 v[174:175], v[174:175], s[4:5]
	v_fma_f64 v[50:51], v[144:145], s[6:7], v[50:51]
	v_add_f64 v[30:31], v[30:31], v[66:67]
	v_fma_f64 v[56:57], v[144:145], s[12:13], v[52:53]
	v_add_f64 v[32:33], v[54:55], v[32:33]
	v_mul_f64 v[54:55], v[158:159], s[0:1]
	v_add_f64 v[14:15], v[189:190], v[14:15]
	v_fma_f64 v[52:53], v[144:145], s[12:13], -v[52:53]
	v_add_f64 v[20:21], v[148:149], v[20:21]
	v_fma_f64 v[187:188], v[172:173], s[6:7], v[178:179]
	v_fma_f64 v[178:179], v[172:173], s[6:7], -v[178:179]
	v_fma_f64 v[195:196], v[172:173], s[12:13], -v[174:175]
	v_fma_f64 v[172:173], v[172:173], s[12:13], v[174:175]
	v_add_f64 v[26:27], v[50:51], v[26:27]
	v_add_f64 v[34:35], v[56:57], v[34:35]
	v_add_f64 v[56:57], v[70:71], v[12:13]
	v_mul_f64 v[12:13], v[152:153], s[6:7]
	v_add_f64 v[32:33], v[64:65], v[32:33]
	v_fma_f64 v[66:67], v[156:157], s[6:7], v[54:55]
	v_fma_f64 v[54:55], v[156:157], s[6:7], -v[54:55]
	v_add_f64 v[28:29], v[52:53], v[28:29]
	v_add_f64 v[22:23], v[187:188], v[22:23]
	;; [unrolled: 1-line block ×5, first 2 shown]
	v_fma_f64 v[58:59], v[160:161], s[12:13], v[10:11]
	v_add_f64 v[20:21], v[191:192], v[20:21]
	v_add_f64 v[26:27], v[46:47], v[26:27]
	;; [unrolled: 1-line block ×3, first 2 shown]
	v_mul_f64 v[12:13], v[168:169], s[16:17]
	v_add_f64 v[34:35], v[66:67], v[34:35]
	v_fma_f64 v[66:67], v[160:161], s[12:13], -v[10:11]
	v_mul_f64 v[10:11], v[154:155], s[4:5]
	v_add_f64 v[22:23], v[180:181], v[22:23]
	v_add_f64 v[50:51], v[164:165], v[16:17]
	v_mul_f64 v[16:17], v[168:169], s[24:25]
	v_add_f64 v[24:25], v[185:186], v[24:25]
	v_add_f64 v[74:75], v[170:171], v[48:49]
	;; [unrolled: 1-line block ×3, first 2 shown]
	v_fma_f64 v[70:71], v[160:161], s[14:15], -v[12:13]
	v_fma_f64 v[72:73], v[160:161], s[14:15], v[12:13]
	v_mul_f64 v[12:13], v[154:155], s[16:17]
	v_fma_f64 v[48:49], v[152:153], s[12:13], v[10:11]
	v_fma_f64 v[76:77], v[152:153], s[12:13], -v[10:11]
	v_add_f64 v[10:11], v[193:194], v[20:21]
	v_add_f64 v[52:53], v[182:183], -v[16:17]
	v_add_f64 v[16:17], v[30:31], v[60:61]
	v_add_f64 v[46:47], v[58:59], v[22:23]
	;; [unrolled: 1-line block ×4, first 2 shown]
	v_fma_f64 v[78:79], v[152:153], s[14:15], v[12:13]
	v_fma_f64 v[140:141], v[152:153], s[14:15], -v[12:13]
	v_add_f64 v[12:13], v[0:1], v[14:15]
	buffer_load_dword v1, off, s[44:47], 0 offset:152 ; 4-byte Folded Reload
	v_mov_b32_e32 v0, 33
	v_add_f64 v[14:15], v[44:45], v[62:63]
	v_add_f64 v[58:59], v[52:53], v[56:57]
	;; [unrolled: 1-line block ×8, first 2 shown]
	s_waitcnt vmcnt(0)
	v_mul_u32_u24_sdwa v0, v1, v0 dst_sel:DWORD dst_unused:UNUSED_PAD src0_sel:WORD_0 src1_sel:DWORD
	buffer_load_dword v1, off, s[44:47], 0 offset:156 ; 4-byte Folded Reload
	s_waitcnt vmcnt(0)
	v_add_lshl_u32 v0, v0, v1, 4
	ds_write_b128 v0, v[14:17]
	ds_write_b128 v0, v[10:13] offset:48
	ds_write_b128 v0, v[56:59] offset:96
	;; [unrolled: 1-line block ×10, first 2 shown]
.LBB0_13:
	s_or_b32 exec_lo, exec_lo, s33
	s_waitcnt lgkmcnt(0)
	s_barrier
	buffer_gl0_inv
	ds_read_b128 v[0:3], v19 offset:5808
	ds_read_b128 v[4:7], v19 offset:11616
	;; [unrolled: 1-line block ×7, first 2 shown]
	s_mov_b32 s0, 0xe8584caa
	s_mov_b32 s1, 0xbfebb67a
	;; [unrolled: 1-line block ×4, first 2 shown]
	s_waitcnt lgkmcnt(6)
	v_mul_f64 v[16:17], v[86:87], v[2:3]
	s_waitcnt lgkmcnt(5)
	v_mul_f64 v[20:21], v[82:83], v[6:7]
	v_mul_f64 v[22:23], v[86:87], v[0:1]
	v_mul_f64 v[24:25], v[82:83], v[4:5]
	s_waitcnt lgkmcnt(4)
	v_mul_f64 v[26:27], v[94:95], v[10:11]
	s_waitcnt lgkmcnt(3)
	v_mul_f64 v[28:29], v[90:91], v[14:15]
	v_mul_f64 v[30:31], v[94:95], v[8:9]
	v_mul_f64 v[32:33], v[90:91], v[12:13]
	;; [unrolled: 6-line block ×3, first 2 shown]
	v_fma_f64 v[16:17], v[84:85], v[0:1], v[16:17]
	v_fma_f64 v[20:21], v[80:81], v[4:5], v[20:21]
	v_fma_f64 v[22:23], v[84:85], v[2:3], -v[22:23]
	v_fma_f64 v[24:25], v[80:81], v[6:7], -v[24:25]
	v_fma_f64 v[8:9], v[92:93], v[8:9], v[26:27]
	v_fma_f64 v[12:13], v[88:89], v[12:13], v[28:29]
	v_fma_f64 v[10:11], v[92:93], v[10:11], -v[30:31]
	v_fma_f64 v[14:15], v[88:89], v[14:15], -v[32:33]
	v_fma_f64 v[26:27], v[100:101], v[44:45], v[34:35]
	v_fma_f64 v[28:29], v[96:97], v[48:49], v[56:57]
	v_fma_f64 v[30:31], v[100:101], v[46:47], -v[58:59]
	ds_read_b128 v[0:3], v19
	ds_read_b128 v[4:7], v19 offset:1936
	v_fma_f64 v[32:33], v[96:97], v[50:51], -v[60:61]
	s_waitcnt lgkmcnt(0)
	s_barrier
	buffer_gl0_inv
	v_add_f64 v[34:35], v[16:17], v[20:21]
	v_add_f64 v[44:45], v[22:23], v[24:25]
	v_add_f64 v[60:61], v[22:23], -v[24:25]
	v_add_f64 v[46:47], v[8:9], v[12:13]
	v_add_f64 v[48:49], v[10:11], v[14:15]
	;; [unrolled: 1-line block ×8, first 2 shown]
	v_add_f64 v[16:17], v[16:17], -v[20:21]
	v_add_f64 v[62:63], v[4:5], v[8:9]
	v_add_f64 v[56:57], v[30:31], v[32:33]
	v_add_f64 v[10:11], v[10:11], -v[14:15]
	v_add_f64 v[8:9], v[8:9], -v[12:13]
	;; [unrolled: 1-line block ×4, first 2 shown]
	v_fma_f64 v[0:1], v[34:35], -0.5, v[0:1]
	v_fma_f64 v[2:3], v[44:45], -0.5, v[2:3]
	;; [unrolled: 1-line block ×4, first 2 shown]
	v_add_f64 v[44:45], v[58:59], v[20:21]
	v_add_f64 v[46:47], v[22:23], v[24:25]
	v_fma_f64 v[34:35], v[50:51], -0.5, v[52:53]
	v_add_f64 v[50:51], v[64:65], v[14:15]
	v_add_f64 v[64:65], v[66:67], v[28:29]
	;; [unrolled: 1-line block ×4, first 2 shown]
	v_fma_f64 v[76:77], v[56:57], -0.5, v[54:55]
	v_fma_f64 v[68:69], v[60:61], s[0:1], v[0:1]
	v_fma_f64 v[60:61], v[60:61], s[4:5], v[0:1]
	;; [unrolled: 1-line block ×8, first 2 shown]
	ds_write_b128 v184, v[44:47]
	ds_write_b128 v184, v[68:71] offset:528
	ds_write_b128 v184, v[60:63] offset:1056
	ds_write_b128 v255, v[48:51]
	ds_write_b128 v255, v[52:55] offset:528
	ds_write_b128 v255, v[56:59] offset:1056
	buffer_load_dword v0, off, s[44:47], 0 offset:172 ; 4-byte Folded Reload
	v_fma_f64 v[72:73], v[30:31], s[0:1], v[34:35]
	v_fma_f64 v[80:81], v[30:31], s[4:5], v[34:35]
	;; [unrolled: 1-line block ×4, first 2 shown]
	s_waitcnt vmcnt(0)
	ds_write_b128 v0, v[64:67]
	ds_write_b128 v0, v[72:75] offset:528
	ds_write_b128 v0, v[80:83] offset:1056
	s_waitcnt lgkmcnt(0)
	s_barrier
	buffer_gl0_inv
	s_and_saveexec_b32 s0, vcc_lo
	s_cbranch_execz .LBB0_15
; %bb.14:
	ds_read_b128 v[44:47], v19
	ds_read_b128 v[68:71], v19 offset:1584
	ds_read_b128 v[60:63], v19 offset:3168
	;; [unrolled: 1-line block ×10, first 2 shown]
.LBB0_15:
	s_or_b32 exec_lo, exec_lo, s0
	s_and_saveexec_b32 s33, vcc_lo
	s_cbranch_execz .LBB0_17
; %bb.16:
	s_clause 0x3
	buffer_load_dword v32, off, s[44:47], 0 offset:176
	buffer_load_dword v33, off, s[44:47], 0 offset:180
	;; [unrolled: 1-line block ×4, first 2 shown]
	s_waitcnt lgkmcnt(0)
	v_mul_f64 v[2:3], v[118:119], v[38:39]
	v_mul_f64 v[6:7], v[118:119], v[36:37]
	;; [unrolled: 1-line block ×9, first 2 shown]
	s_mov_b32 s22, 0xfd768dbf
	s_mov_b32 s23, 0xbfd207e7
	v_mul_f64 v[14:15], v[138:139], v[64:65]
	v_mul_f64 v[20:21], v[130:131], v[74:75]
	s_mov_b32 s14, 0xbb3a28a1
	s_mov_b32 s12, 0xf8bb580b
	;; [unrolled: 1-line block ×6, first 2 shown]
	v_mul_f64 v[10:11], v[138:139], v[66:67]
	s_mov_b32 s16, 0x43842ef
	s_mov_b32 s4, 0x7f775887
	v_fma_f64 v[36:37], v[116:117], v[36:37], v[2:3]
	v_fma_f64 v[38:39], v[116:117], v[38:39], -v[6:7]
	v_mul_f64 v[2:3], v[122:123], v[52:53]
	v_mul_f64 v[6:7], v[114:115], v[50:51]
	v_fma_f64 v[22:23], v[104:105], v[60:61], v[22:23]
	v_fma_f64 v[40:41], v[108:109], v[40:41], v[24:25]
	v_fma_f64 v[24:25], v[104:105], v[62:63], -v[26:27]
	v_fma_f64 v[8:9], v[132:133], v[56:57], v[8:9]
	v_fma_f64 v[12:13], v[132:133], v[58:59], -v[12:13]
	v_fma_f64 v[16:17], v[120:121], v[52:53], v[16:17]
	s_mov_b32 s17, 0xbfefac9e
	v_fma_f64 v[14:15], v[136:137], v[66:67], -v[14:15]
	v_fma_f64 v[20:21], v[128:129], v[72:73], v[20:21]
	s_mov_b32 s5, 0xbfe4f49e
	s_mov_b32 s27, 0x3fefac9e
	s_mov_b32 s26, s16
	s_mov_b32 s0, 0x640f44db
	s_mov_b32 s1, 0xbfc2375f
	s_mov_b32 s25, 0x3fed1bb4
	v_fma_f64 v[10:11], v[136:137], v[64:65], v[10:11]
	s_mov_b32 s24, 0x8eee2c13
	s_mov_b32 s29, 0xbfe14ced
	;; [unrolled: 1-line block ×5, first 2 shown]
	v_fma_f64 v[6:7], v[112:113], v[48:49], v[6:7]
	s_mov_b32 s20, 0xd9c712b6
	v_add_f64 v[76:77], v[22:23], v[40:41]
	s_mov_b32 s21, 0x3fda9628
	v_add_f64 v[64:65], v[16:17], -v[20:21]
	v_add_f64 v[94:95], v[16:17], v[20:21]
	v_add_f64 v[62:63], v[8:9], -v[10:11]
	v_add_f64 v[92:93], v[8:9], v[10:11]
	v_mul_f64 v[102:103], v[64:65], s[24:25]
	v_mul_f64 v[118:119], v[62:63], s[24:25]
	v_mul_f64 v[100:101], v[62:63], s[16:17]
	s_waitcnt vmcnt(0)
	v_mul_f64 v[0:1], v[34:35], v[70:71]
	v_mul_f64 v[4:5], v[34:35], v[68:69]
	;; [unrolled: 1-line block ×3, first 2 shown]
	v_fma_f64 v[30:31], v[32:33], v[68:69], v[0:1]
	v_fma_f64 v[32:33], v[32:33], v[70:71], -v[4:5]
	v_mul_f64 v[4:5], v[130:131], v[72:73]
	v_mul_f64 v[68:69], v[114:115], v[48:49]
	;; [unrolled: 1-line block ×3, first 2 shown]
	v_fma_f64 v[0:1], v[108:109], v[42:43], -v[28:29]
	v_fma_f64 v[42:43], v[120:121], v[54:55], -v[2:3]
	v_fma_f64 v[2:3], v[124:125], v[80:81], v[34:35]
	v_mul_f64 v[120:121], v[64:65], s[22:23]
	v_add_f64 v[26:27], v[30:31], -v[36:37]
	v_add_f64 v[28:29], v[32:33], -v[38:39]
	v_fma_f64 v[34:35], v[128:129], v[74:75], -v[4:5]
	v_fma_f64 v[48:49], v[112:113], v[50:51], -v[68:69]
	;; [unrolled: 1-line block ×3, first 2 shown]
	v_add_f64 v[50:51], v[22:23], -v[40:41]
	v_add_f64 v[52:53], v[24:25], -v[0:1]
	v_add_f64 v[54:55], v[32:33], v[38:39]
	v_add_f64 v[56:57], v[30:31], v[36:37]
	v_add_f64 v[66:67], v[6:7], -v[2:3]
	v_add_f64 v[68:69], v[24:25], v[0:1]
	v_add_f64 v[96:97], v[6:7], v[2:3]
	;; [unrolled: 1-line block ×4, first 2 shown]
	v_add_f64 v[70:71], v[12:13], -v[14:15]
	v_add_f64 v[82:83], v[12:13], v[14:15]
	v_mul_f64 v[58:59], v[26:27], s[22:23]
	v_mul_f64 v[60:61], v[28:29], s[22:23]
	;; [unrolled: 1-line block ×3, first 2 shown]
	v_add_f64 v[72:73], v[42:43], -v[34:35]
	v_add_f64 v[74:75], v[48:49], -v[4:5]
	v_mul_f64 v[78:79], v[50:51], s[12:13]
	v_mul_f64 v[80:81], v[52:53], s[12:13]
	v_add_f64 v[90:91], v[48:49], v[4:5]
	v_mul_f64 v[110:111], v[28:29], s[14:15]
	v_mul_f64 v[104:105], v[66:67], s[14:15]
	;; [unrolled: 1-line block ×5, first 2 shown]
	v_add_f64 v[84:85], v[42:43], v[34:35]
	v_mul_f64 v[122:123], v[66:67], s[28:29]
	v_mul_f64 v[134:135], v[52:53], s[26:27]
	;; [unrolled: 1-line block ×3, first 2 shown]
	v_add_f64 v[24:25], v[32:33], v[24:25]
	v_add_f64 v[22:23], v[30:31], v[22:23]
	v_mul_f64 v[106:107], v[70:71], s[16:17]
	v_fma_f64 v[30:31], v[82:83], s[0:1], v[100:101]
	v_fma_f64 v[100:101], v[82:83], s[0:1], -v[100:101]
	v_fma_f64 v[86:87], v[54:55], s[18:19], v[58:59]
	v_fma_f64 v[88:89], v[56:57], s[18:19], -v[60:61]
	v_fma_f64 v[58:59], v[54:55], s[18:19], -v[58:59]
	v_fma_f64 v[60:61], v[56:57], s[18:19], v[60:61]
	v_mul_f64 v[112:113], v[74:75], s[14:15]
	v_fma_f64 v[114:115], v[68:69], s[6:7], v[78:79]
	v_fma_f64 v[116:117], v[76:77], s[6:7], -v[80:81]
	v_fma_f64 v[78:79], v[68:69], s[6:7], -v[78:79]
	v_fma_f64 v[80:81], v[76:77], s[6:7], v[80:81]
	v_fma_f64 v[128:129], v[54:55], s[4:5], v[98:99]
	v_mul_f64 v[108:109], v[72:73], s[24:25]
	v_fma_f64 v[140:141], v[90:91], s[4:5], v[104:105]
	v_fma_f64 v[142:143], v[56:57], s[4:5], -v[110:111]
	v_fma_f64 v[104:105], v[90:91], s[4:5], -v[104:105]
	;; [unrolled: 1-line block ×3, first 2 shown]
	v_fma_f64 v[110:111], v[56:57], s[4:5], v[110:111]
	v_fma_f64 v[146:147], v[68:69], s[0:1], v[126:127]
	v_fma_f64 v[150:151], v[56:57], s[0:1], -v[136:137]
	v_mul_f64 v[132:133], v[74:75], s[28:29]
	v_fma_f64 v[32:33], v[84:85], s[20:21], v[102:103]
	v_fma_f64 v[102:103], v[84:85], s[20:21], -v[102:103]
	v_fma_f64 v[152:153], v[76:77], s[0:1], -v[134:135]
	v_add_f64 v[86:87], v[46:47], v[86:87]
	v_add_f64 v[88:89], v[44:45], v[88:89]
	;; [unrolled: 1-line block ×4, first 2 shown]
	v_fma_f64 v[144:145], v[96:97], s[4:5], -v[112:113]
	v_fma_f64 v[112:113], v[96:97], s[4:5], v[112:113]
	v_fma_f64 v[126:127], v[68:69], s[0:1], -v[126:127]
	v_fma_f64 v[134:135], v[76:77], s[0:1], v[134:135]
	v_mul_f64 v[130:131], v[72:73], s[22:23]
	v_add_f64 v[128:129], v[46:47], v[128:129]
	v_fma_f64 v[148:149], v[94:95], s[20:21], -v[108:109]
	v_fma_f64 v[108:109], v[94:95], s[20:21], v[108:109]
	v_add_f64 v[142:143], v[44:45], v[142:143]
	v_add_f64 v[24:25], v[24:25], v[48:49]
	;; [unrolled: 1-line block ×5, first 2 shown]
	v_fma_f64 v[22:23], v[84:85], s[18:19], -v[120:121]
	v_add_f64 v[86:87], v[114:115], v[86:87]
	v_add_f64 v[88:89], v[116:117], v[88:89]
	;; [unrolled: 1-line block ×4, first 2 shown]
	v_mul_f64 v[78:79], v[50:51], s[30:31]
	v_mul_f64 v[114:115], v[52:53], s[30:31]
	v_fma_f64 v[116:117], v[54:55], s[0:1], v[124:125]
	v_mul_f64 v[80:81], v[74:75], s[24:25]
	v_fma_f64 v[124:125], v[54:55], s[0:1], -v[124:125]
	v_add_f64 v[128:129], v[146:147], v[128:129]
	v_add_f64 v[146:147], v[44:45], v[150:151]
	v_fma_f64 v[150:151], v[96:97], s[6:7], -v[132:133]
	v_fma_f64 v[132:133], v[96:97], s[6:7], v[132:133]
	v_add_f64 v[142:143], v[152:153], v[142:143]
	v_add_f64 v[98:99], v[126:127], v[98:99]
	v_add_f64 v[110:111], v[134:135], v[110:111]
	v_add_f64 v[24:25], v[24:25], v[42:43]
	v_add_f64 v[6:7], v[6:7], v[16:17]
	v_mul_f64 v[16:17], v[28:29], s[28:29]
	v_fma_f64 v[126:127], v[82:83], s[20:21], v[118:119]
	v_fma_f64 v[42:43], v[82:83], s[20:21], -v[118:119]
	v_fma_f64 v[118:119], v[90:91], s[20:21], -v[138:139]
	v_add_f64 v[86:87], v[140:141], v[86:87]
	v_add_f64 v[88:89], v[144:145], v[88:89]
	;; [unrolled: 1-line block ×4, first 2 shown]
	v_fma_f64 v[104:105], v[68:69], s[18:19], v[78:79]
	v_fma_f64 v[144:145], v[76:77], s[18:19], -v[114:115]
	v_add_f64 v[112:113], v[46:47], v[116:117]
	v_fma_f64 v[116:117], v[90:91], s[6:7], v[122:123]
	v_fma_f64 v[122:123], v[90:91], s[6:7], -v[122:123]
	v_fma_f64 v[134:135], v[96:97], s[20:21], -v[80:81]
	v_fma_f64 v[114:115], v[76:77], s[18:19], v[114:115]
	v_fma_f64 v[78:79], v[68:69], s[18:19], -v[78:79]
	v_fma_f64 v[140:141], v[92:93], s[0:1], -v[106:107]
	v_add_f64 v[142:143], v[150:151], v[142:143]
	v_fma_f64 v[106:107], v[92:93], s[0:1], v[106:107]
	v_add_f64 v[110:111], v[132:133], v[110:111]
	v_add_f64 v[12:13], v[24:25], v[12:13]
	v_add_f64 v[6:7], v[6:7], v[8:9]
	v_fma_f64 v[8:9], v[56:57], s[6:7], v[16:17]
	v_fma_f64 v[16:17], v[56:57], s[6:7], -v[16:17]
	v_add_f64 v[32:33], v[32:33], v[86:87]
	v_add_f64 v[86:87], v[148:149], v[88:89]
	;; [unrolled: 1-line block ×4, first 2 shown]
	v_fma_f64 v[102:103], v[56:57], s[0:1], v[136:137]
	v_fma_f64 v[108:109], v[90:91], s[20:21], v[138:139]
	v_add_f64 v[104:105], v[104:105], v[112:113]
	v_fma_f64 v[112:113], v[84:85], s[18:19], v[120:121]
	v_add_f64 v[116:117], v[116:117], v[128:129]
	v_mul_f64 v[128:129], v[72:73], s[28:29]
	v_add_f64 v[136:137], v[144:145], v[146:147]
	v_mul_f64 v[88:89], v[64:65], s[28:29]
	v_mul_f64 v[144:145], v[70:71], s[24:25]
	s_mov_b32 s25, 0xbfed1bb4
	v_fma_f64 v[146:147], v[94:95], s[18:19], -v[130:131]
	v_add_f64 v[48:49], v[122:123], v[98:99]
	v_fma_f64 v[98:99], v[94:95], s[18:19], v[130:131]
	v_add_f64 v[120:121], v[46:47], v[124:125]
	v_mul_f64 v[28:29], v[28:29], s[24:25]
	v_add_f64 v[12:13], v[12:13], v[14:15]
	v_add_f64 v[6:7], v[6:7], v[10:11]
	;; [unrolled: 1-line block ×4, first 2 shown]
	v_mul_f64 v[122:123], v[62:63], s[14:15]
	v_add_f64 v[102:103], v[44:45], v[102:103]
	v_add_f64 v[104:105], v[108:109], v[104:105]
	;; [unrolled: 1-line block ×3, first 2 shown]
	v_mul_f64 v[112:113], v[26:27], s[24:25]
	v_fma_f64 v[130:131], v[94:95], s[6:7], -v[128:129]
	v_add_f64 v[132:133], v[134:135], v[136:137]
	v_mul_f64 v[26:27], v[26:27], s[28:29]
	v_fma_f64 v[124:125], v[84:85], s[6:7], v[88:89]
	v_add_f64 v[136:137], v[146:147], v[142:143]
	v_add_f64 v[22:23], v[22:23], v[48:49]
	v_fma_f64 v[48:49], v[96:97], s[20:21], v[80:81]
	v_add_f64 v[98:99], v[98:99], v[110:111]
	v_mul_f64 v[110:111], v[50:51], s[14:15]
	v_mul_f64 v[50:51], v[50:51], s[24:25]
	v_add_f64 v[78:79], v[78:79], v[120:121]
	v_fma_f64 v[24:25], v[56:57], s[20:21], v[28:29]
	v_fma_f64 v[28:29], v[56:57], s[20:21], -v[28:29]
	v_fma_f64 v[134:135], v[92:93], s[20:21], -v[144:145]
	v_fma_f64 v[120:121], v[92:93], s[20:21], v[144:145]
	v_mul_f64 v[56:57], v[74:75], s[30:31]
	v_add_f64 v[80:81], v[114:115], v[102:103]
	v_mul_f64 v[74:75], v[74:75], s[16:17]
	v_add_f64 v[12:13], v[12:13], v[34:35]
	v_add_f64 v[6:7], v[6:7], v[20:21]
	v_fma_f64 v[88:89], v[84:85], s[6:7], -v[88:89]
	v_fma_f64 v[114:115], v[54:55], s[20:21], -v[112:113]
	v_fma_f64 v[112:113], v[54:55], s[20:21], v[112:113]
	v_add_f64 v[130:131], v[130:131], v[132:133]
	v_fma_f64 v[132:133], v[54:55], s[6:7], -v[26:27]
	v_add_f64 v[104:105], v[124:125], v[104:105]
	v_mul_f64 v[124:125], v[52:53], s[14:15]
	v_mul_f64 v[52:53], v[52:53], s[24:25]
	v_fma_f64 v[26:27], v[54:55], s[6:7], v[26:27]
	v_mul_f64 v[54:55], v[66:67], s[30:31]
	v_mul_f64 v[66:67], v[66:67], s[16:17]
	v_fma_f64 v[142:143], v[68:69], s[20:21], -v[50:51]
	v_add_f64 v[78:79], v[118:119], v[78:79]
	v_fma_f64 v[118:119], v[94:95], s[6:7], v[128:129]
	v_add_f64 v[10:11], v[44:45], v[24:25]
	v_fma_f64 v[14:15], v[68:69], s[4:5], v[110:111]
	;; [unrolled: 2-line block ×3, first 2 shown]
	v_add_f64 v[48:49], v[48:49], v[80:81]
	v_fma_f64 v[80:81], v[68:69], s[4:5], -v[110:111]
	v_mul_f64 v[44:45], v[64:65], s[26:27]
	v_mul_f64 v[64:65], v[64:65], s[14:15]
	v_add_f64 v[4:5], v[12:13], v[4:5]
	v_add_f64 v[114:115], v[46:47], v[114:115]
	;; [unrolled: 1-line block ×5, first 2 shown]
	v_mul_f64 v[116:117], v[70:71], s[14:15]
	v_fma_f64 v[128:129], v[76:77], s[4:5], v[124:125]
	v_fma_f64 v[144:145], v[76:77], s[20:21], v[52:53]
	v_fma_f64 v[110:111], v[76:77], s[4:5], -v[124:125]
	v_add_f64 v[26:27], v[46:47], v[26:27]
	v_fma_f64 v[46:47], v[76:77], s[20:21], -v[52:53]
	v_fma_f64 v[68:69], v[90:91], s[18:19], -v[54:55]
	;; [unrolled: 1-line block ×3, first 2 shown]
	v_mul_f64 v[52:53], v[72:73], s[26:27]
	v_mul_f64 v[72:73], v[72:73], s[14:15]
	v_fma_f64 v[124:125], v[96:97], s[0:1], v[74:75]
	v_fma_f64 v[20:21], v[90:91], s[18:19], v[54:55]
	;; [unrolled: 1-line block ×3, first 2 shown]
	v_mul_f64 v[54:55], v[70:71], s[12:13]
	v_mul_f64 v[70:71], v[70:71], s[22:23]
	v_fma_f64 v[102:103], v[82:83], s[4:5], v[122:123]
	v_add_f64 v[76:77], v[80:81], v[114:115]
	v_fma_f64 v[80:81], v[96:97], s[18:19], v[56:57]
	v_add_f64 v[14:15], v[14:15], v[24:25]
	v_add_f64 v[114:115], v[142:143], v[132:133]
	v_fma_f64 v[24:25], v[96:97], s[18:19], -v[56:57]
	v_add_f64 v[10:11], v[128:129], v[10:11]
	v_add_f64 v[8:9], v[144:145], v[8:9]
	;; [unrolled: 1-line block ×4, first 2 shown]
	v_fma_f64 v[50:51], v[96:97], s[0:1], -v[74:75]
	v_add_f64 v[16:17], v[46:47], v[16:17]
	v_mul_f64 v[46:47], v[62:63], s[12:13]
	v_fma_f64 v[56:57], v[84:85], s[0:1], -v[44:45]
	v_mul_f64 v[62:63], v[62:63], s[22:23]
	v_fma_f64 v[74:75], v[84:85], s[4:5], -v[64:65]
	v_fma_f64 v[90:91], v[94:95], s[4:5], v[72:73]
	v_fma_f64 v[138:139], v[92:93], s[4:5], -v[116:117]
	v_add_f64 v[66:67], v[68:69], v[76:77]
	v_fma_f64 v[68:69], v[94:95], s[0:1], v[52:53]
	v_add_f64 v[12:13], v[20:21], v[14:15]
	v_add_f64 v[76:77], v[112:113], v[114:115]
	v_fma_f64 v[14:15], v[94:95], s[0:1], -v[52:53]
	v_add_f64 v[6:7], v[124:125], v[8:9]
	v_add_f64 v[8:9], v[80:81], v[10:11]
	v_fma_f64 v[10:11], v[84:85], s[0:1], v[44:45]
	v_add_f64 v[20:21], v[24:25], v[28:29]
	v_fma_f64 v[24:25], v[84:85], s[4:5], v[64:65]
	v_add_f64 v[26:27], v[34:35], v[26:27]
	v_fma_f64 v[28:29], v[94:95], s[4:5], -v[72:73]
	v_add_f64 v[16:17], v[50:51], v[16:17]
	v_fma_f64 v[34:35], v[82:83], s[4:5], -v[122:123]
	v_add_f64 v[44:45], v[88:89], v[78:79]
	v_add_f64 v[72:73], v[118:119], v[48:49]
	v_fma_f64 v[48:49], v[82:83], s[6:7], -v[46:47]
	v_fma_f64 v[52:53], v[82:83], s[18:19], -v[62:63]
	v_add_f64 v[78:79], v[2:3], v[40:41]
	v_fma_f64 v[64:65], v[92:93], s[4:5], v[116:117]
	v_fma_f64 v[84:85], v[82:83], s[6:7], v[46:47]
	v_add_f64 v[50:51], v[56:57], v[66:67]
	v_fma_f64 v[56:57], v[92:93], s[6:7], v[54:55]
	v_fma_f64 v[62:63], v[82:83], s[18:19], v[62:63]
	v_add_f64 v[66:67], v[74:75], v[76:77]
	v_add_f64 v[76:77], v[4:5], v[0:1]
	v_fma_f64 v[74:75], v[92:93], s[18:19], v[70:71]
	v_add_f64 v[80:81], v[90:91], v[6:7]
	v_add_f64 v[68:69], v[68:69], v[8:9]
	;; [unrolled: 1-line block ×3, first 2 shown]
	v_fma_f64 v[90:91], v[92:93], s[6:7], -v[54:55]
	v_add_f64 v[20:21], v[14:15], v[20:21]
	v_add_f64 v[24:25], v[24:25], v[26:27]
	v_fma_f64 v[26:27], v[92:93], s[18:19], -v[70:71]
	v_add_f64 v[16:17], v[28:29], v[16:17]
	v_add_f64 v[14:15], v[42:43], v[22:23]
	;; [unrolled: 1-line block ×23, first 2 shown]
	ds_write_b128 v19, v[50:53]
	ds_write_b128 v19, v[46:49] offset:1584
	ds_write_b128 v19, v[42:45] offset:3168
	;; [unrolled: 1-line block ×10, first 2 shown]
.LBB0_17:
	s_or_b32 exec_lo, exec_lo, s33
	s_waitcnt lgkmcnt(0)
	s_barrier
	buffer_gl0_inv
	ds_read_b128 v[0:3], v19
	ds_read_b128 v[4:7], v19 offset:5808
	s_clause 0x1
	buffer_load_dword v8, off, s[44:47], 0
	buffer_load_dword v9, off, s[44:47], 0 offset:4
	v_mad_u64_u32 v[20:21], null, s8, v18, 0
	s_mul_i32 s4, s9, 0x16b0
	s_mul_hi_u32 s5, s8, 0x16b0
	s_mul_i32 s6, s8, 0x16b0
	s_add_i32 s5, s5, s4
	s_mov_b32 s0, 0xa3611655
	s_mov_b32 s1, 0x3f4e1709
	s_waitcnt vmcnt(1)
	v_mov_b32_e32 v30, v8
	s_waitcnt vmcnt(0)
	ds_read_b128 v[8:11], v19 offset:11616
	ds_read_b128 v[12:15], v19 offset:1936
	;; [unrolled: 1-line block ×4, first 2 shown]
	s_clause 0x7
	buffer_load_dword v64, off, s[44:47], 0 offset:8
	buffer_load_dword v65, off, s[44:47], 0 offset:12
	;; [unrolled: 1-line block ×8, first 2 shown]
	ds_read_b128 v[44:47], v19 offset:13552
	ds_read_b128 v[48:51], v19 offset:9680
	;; [unrolled: 1-line block ×3, first 2 shown]
	s_clause 0x3
	buffer_load_dword v80, off, s[44:47], 0 offset:120
	buffer_load_dword v81, off, s[44:47], 0 offset:124
	;; [unrolled: 1-line block ×4, first 2 shown]
	v_mad_u64_u32 v[16:17], null, s10, v30, 0
	v_mov_b32_e32 v19, v21
	v_mad_u64_u32 v[30:31], null, s11, v30, v[17:18]
	v_mad_u64_u32 v[18:19], null, s9, v18, v[19:20]
	v_mov_b32_e32 v17, v30
	v_mov_b32_e32 v21, v18
	v_lshlrev_b64 v[16:17], 4, v[16:17]
	v_lshlrev_b64 v[20:21], 4, v[20:21]
	s_waitcnt vmcnt(8) lgkmcnt(8)
	v_mul_f64 v[22:23], v[66:67], v[2:3]
	v_mul_f64 v[24:25], v[66:67], v[0:1]
	s_clause 0x7
	buffer_load_dword v66, off, s[44:47], 0 offset:24
	buffer_load_dword v67, off, s[44:47], 0 offset:28
	buffer_load_dword v68, off, s[44:47], 0 offset:32
	buffer_load_dword v69, off, s[44:47], 0 offset:36
	buffer_load_dword v76, off, s[44:47], 0 offset:72
	buffer_load_dword v77, off, s[44:47], 0 offset:76
	buffer_load_dword v78, off, s[44:47], 0 offset:80
	buffer_load_dword v79, off, s[44:47], 0 offset:84
	s_waitcnt vmcnt(12) lgkmcnt(7)
	v_mul_f64 v[26:27], v[72:73], v[6:7]
	v_mul_f64 v[28:29], v[72:73], v[4:5]
	s_waitcnt vmcnt(8) lgkmcnt(6)
	v_mul_f64 v[31:32], v[82:83], v[10:11]
	v_mul_f64 v[33:34], v[82:83], v[8:9]
	s_clause 0x3
	buffer_load_dword v72, off, s[44:47], 0 offset:56
	buffer_load_dword v73, off, s[44:47], 0 offset:60
	buffer_load_dword v74, off, s[44:47], 0 offset:64
	buffer_load_dword v75, off, s[44:47], 0 offset:68
	v_fma_f64 v[0:1], v[64:65], v[0:1], v[22:23]
	v_fma_f64 v[2:3], v[64:65], v[2:3], -v[24:25]
	v_fma_f64 v[4:5], v[70:71], v[4:5], v[26:27]
	v_fma_f64 v[6:7], v[70:71], v[6:7], -v[28:29]
	;; [unrolled: 2-line block ×3, first 2 shown]
	v_add_co_u32 v26, vcc_lo, s2, v16
	v_add_co_ci_u32_e32 v27, vcc_lo, s3, v17, vcc_lo
	s_mul_i32 s2, s9, 0xffffda30
	v_add_co_u32 v64, vcc_lo, v26, v20
	v_add_co_ci_u32_e32 v65, vcc_lo, v27, v21, vcc_lo
	s_sub_i32 s2, s2, s8
	v_mul_f64 v[0:1], v[0:1], s[0:1]
	v_mul_f64 v[2:3], v[2:3], s[0:1]
	;; [unrolled: 1-line block ×6, first 2 shown]
	s_waitcnt vmcnt(8) lgkmcnt(5)
	v_mul_f64 v[56:57], v[68:69], v[14:15]
	v_mul_f64 v[58:59], v[68:69], v[12:13]
	s_waitcnt vmcnt(4) lgkmcnt(4)
	v_mul_f64 v[60:61], v[78:79], v[38:39]
	v_mul_f64 v[62:63], v[78:79], v[36:37]
	s_clause 0x7
	buffer_load_dword v68, off, s[44:47], 0 offset:40
	buffer_load_dword v69, off, s[44:47], 0 offset:44
	buffer_load_dword v70, off, s[44:47], 0 offset:48
	buffer_load_dword v71, off, s[44:47], 0 offset:52
	buffer_load_dword v78, off, s[44:47], 0 offset:88
	buffer_load_dword v79, off, s[44:47], 0 offset:92
	buffer_load_dword v80, off, s[44:47], 0 offset:96
	buffer_load_dword v81, off, s[44:47], 0 offset:100
	s_waitcnt vmcnt(8) lgkmcnt(2)
	v_mul_f64 v[18:19], v[74:75], v[46:47]
	v_mul_f64 v[22:23], v[74:75], v[44:45]
	v_fma_f64 v[12:13], v[66:67], v[12:13], v[56:57]
	v_add_co_u32 v56, vcc_lo, v64, s6
	v_add_co_ci_u32_e32 v57, vcc_lo, s5, v65, vcc_lo
	v_fma_f64 v[32:33], v[76:77], v[36:37], v[60:61]
	v_add_co_u32 v36, vcc_lo, v56, s6
	v_fma_f64 v[34:35], v[76:77], v[38:39], -v[62:63]
	v_fma_f64 v[38:39], v[72:73], v[44:45], v[18:19]
	v_add_co_ci_u32_e32 v37, vcc_lo, s5, v57, vcc_lo
	v_fma_f64 v[14:15], v[66:67], v[14:15], -v[58:59]
	v_fma_f64 v[22:23], v[72:73], v[46:47], -v[22:23]
	v_mad_u64_u32 v[44:45], null, 0xffffda30, s8, v[36:37]
	v_mul_f64 v[12:13], v[12:13], s[0:1]
	v_add_nc_u32_e32 v45, s2, v45
	v_mul_f64 v[18:19], v[34:35], s[0:1]
	v_mul_f64 v[14:15], v[14:15], s[0:1]
	v_mul_f64 v[22:23], v[22:23], s[0:1]
	s_waitcnt vmcnt(4)
	v_mul_f64 v[24:25], v[70:71], v[42:43]
	s_waitcnt vmcnt(0) lgkmcnt(1)
	v_mul_f64 v[20:21], v[80:81], v[50:51]
	v_mul_f64 v[26:27], v[80:81], v[48:49]
	s_clause 0x3
	buffer_load_dword v80, off, s[44:47], 0 offset:104
	buffer_load_dword v81, off, s[44:47], 0 offset:108
	;; [unrolled: 1-line block ×4, first 2 shown]
	v_mul_f64 v[16:17], v[70:71], v[40:41]
	global_store_dwordx4 v[64:65], v[0:3], off
	global_store_dwordx4 v[56:57], v[4:7], off
	;; [unrolled: 1-line block ×4, first 2 shown]
	v_fma_f64 v[24:25], v[68:69], v[40:41], v[24:25]
	v_fma_f64 v[46:47], v[78:79], v[50:51], -v[26:27]
	v_fma_f64 v[40:41], v[68:69], v[42:43], -v[16:17]
	v_fma_f64 v[42:43], v[78:79], v[48:49], v[20:21]
	v_mul_f64 v[20:21], v[38:39], s[0:1]
	v_mul_f64 v[16:17], v[32:33], s[0:1]
	;; [unrolled: 1-line block ×4, first 2 shown]
	s_waitcnt vmcnt(0) lgkmcnt(0)
	v_mul_f64 v[28:29], v[82:83], v[54:55]
	v_mul_f64 v[30:31], v[82:83], v[52:53]
	v_fma_f64 v[48:49], v[80:81], v[52:53], v[28:29]
	v_fma_f64 v[50:51], v[80:81], v[54:55], -v[30:31]
	v_add_co_u32 v52, vcc_lo, v44, s6
	v_add_co_ci_u32_e32 v53, vcc_lo, s5, v45, vcc_lo
	v_mul_f64 v[28:29], v[42:43], s[0:1]
	v_add_co_u32 v38, vcc_lo, v52, s6
	v_add_co_ci_u32_e32 v39, vcc_lo, s5, v53, vcc_lo
	v_mul_f64 v[30:31], v[46:47], s[0:1]
	v_mad_u64_u32 v[40:41], null, 0xffffda30, s8, v[38:39]
	v_mul_f64 v[32:33], v[48:49], s[0:1]
	v_mul_f64 v[34:35], v[50:51], s[0:1]
	v_add_nc_u32_e32 v41, s2, v41
	v_add_co_u32 v0, vcc_lo, v40, s6
	v_add_co_ci_u32_e32 v1, vcc_lo, s5, v41, vcc_lo
	v_add_co_u32 v2, vcc_lo, v0, s6
	v_add_co_ci_u32_e32 v3, vcc_lo, s5, v1, vcc_lo
	global_store_dwordx4 v[52:53], v[16:19], off
	global_store_dwordx4 v[38:39], v[20:23], off
	;; [unrolled: 1-line block ×5, first 2 shown]
.LBB0_18:
	s_endpgm
	.section	.rodata,"a",@progbits
	.p2align	6, 0x0
	.amdhsa_kernel bluestein_single_back_len1089_dim1_dp_op_CI_CI
		.amdhsa_group_segment_fixed_size 17424
		.amdhsa_private_segment_fixed_size 236
		.amdhsa_kernarg_size 104
		.amdhsa_user_sgpr_count 6
		.amdhsa_user_sgpr_private_segment_buffer 1
		.amdhsa_user_sgpr_dispatch_ptr 0
		.amdhsa_user_sgpr_queue_ptr 0
		.amdhsa_user_sgpr_kernarg_segment_ptr 1
		.amdhsa_user_sgpr_dispatch_id 0
		.amdhsa_user_sgpr_flat_scratch_init 0
		.amdhsa_user_sgpr_private_segment_size 0
		.amdhsa_wavefront_size32 1
		.amdhsa_uses_dynamic_stack 0
		.amdhsa_system_sgpr_private_segment_wavefront_offset 1
		.amdhsa_system_sgpr_workgroup_id_x 1
		.amdhsa_system_sgpr_workgroup_id_y 0
		.amdhsa_system_sgpr_workgroup_id_z 0
		.amdhsa_system_sgpr_workgroup_info 0
		.amdhsa_system_vgpr_workitem_id 0
		.amdhsa_next_free_vgpr 256
		.amdhsa_next_free_sgpr 48
		.amdhsa_reserve_vcc 1
		.amdhsa_reserve_flat_scratch 0
		.amdhsa_float_round_mode_32 0
		.amdhsa_float_round_mode_16_64 0
		.amdhsa_float_denorm_mode_32 3
		.amdhsa_float_denorm_mode_16_64 3
		.amdhsa_dx10_clamp 1
		.amdhsa_ieee_mode 1
		.amdhsa_fp16_overflow 0
		.amdhsa_workgroup_processor_mode 1
		.amdhsa_memory_ordered 1
		.amdhsa_forward_progress 0
		.amdhsa_shared_vgpr_count 0
		.amdhsa_exception_fp_ieee_invalid_op 0
		.amdhsa_exception_fp_denorm_src 0
		.amdhsa_exception_fp_ieee_div_zero 0
		.amdhsa_exception_fp_ieee_overflow 0
		.amdhsa_exception_fp_ieee_underflow 0
		.amdhsa_exception_fp_ieee_inexact 0
		.amdhsa_exception_int_div_zero 0
	.end_amdhsa_kernel
	.text
.Lfunc_end0:
	.size	bluestein_single_back_len1089_dim1_dp_op_CI_CI, .Lfunc_end0-bluestein_single_back_len1089_dim1_dp_op_CI_CI
                                        ; -- End function
	.section	.AMDGPU.csdata,"",@progbits
; Kernel info:
; codeLenInByte = 19916
; NumSgprs: 50
; NumVgprs: 256
; ScratchSize: 236
; MemoryBound: 0
; FloatMode: 240
; IeeeMode: 1
; LDSByteSize: 17424 bytes/workgroup (compile time only)
; SGPRBlocks: 6
; VGPRBlocks: 31
; NumSGPRsForWavesPerEU: 50
; NumVGPRsForWavesPerEU: 256
; Occupancy: 4
; WaveLimiterHint : 1
; COMPUTE_PGM_RSRC2:SCRATCH_EN: 1
; COMPUTE_PGM_RSRC2:USER_SGPR: 6
; COMPUTE_PGM_RSRC2:TRAP_HANDLER: 0
; COMPUTE_PGM_RSRC2:TGID_X_EN: 1
; COMPUTE_PGM_RSRC2:TGID_Y_EN: 0
; COMPUTE_PGM_RSRC2:TGID_Z_EN: 0
; COMPUTE_PGM_RSRC2:TIDIG_COMP_CNT: 0
	.text
	.p2alignl 6, 3214868480
	.fill 48, 4, 3214868480
	.type	__hip_cuid_b7af82b4cc6e5a0b,@object ; @__hip_cuid_b7af82b4cc6e5a0b
	.section	.bss,"aw",@nobits
	.globl	__hip_cuid_b7af82b4cc6e5a0b
__hip_cuid_b7af82b4cc6e5a0b:
	.byte	0                               ; 0x0
	.size	__hip_cuid_b7af82b4cc6e5a0b, 1

	.ident	"AMD clang version 19.0.0git (https://github.com/RadeonOpenCompute/llvm-project roc-6.4.0 25133 c7fe45cf4b819c5991fe208aaa96edf142730f1d)"
	.section	".note.GNU-stack","",@progbits
	.addrsig
	.addrsig_sym __hip_cuid_b7af82b4cc6e5a0b
	.amdgpu_metadata
---
amdhsa.kernels:
  - .args:
      - .actual_access:  read_only
        .address_space:  global
        .offset:         0
        .size:           8
        .value_kind:     global_buffer
      - .actual_access:  read_only
        .address_space:  global
        .offset:         8
        .size:           8
        .value_kind:     global_buffer
      - .actual_access:  read_only
        .address_space:  global
        .offset:         16
        .size:           8
        .value_kind:     global_buffer
      - .actual_access:  read_only
        .address_space:  global
        .offset:         24
        .size:           8
        .value_kind:     global_buffer
      - .actual_access:  read_only
        .address_space:  global
        .offset:         32
        .size:           8
        .value_kind:     global_buffer
      - .offset:         40
        .size:           8
        .value_kind:     by_value
      - .address_space:  global
        .offset:         48
        .size:           8
        .value_kind:     global_buffer
      - .address_space:  global
        .offset:         56
        .size:           8
        .value_kind:     global_buffer
      - .address_space:  global
        .offset:         64
        .size:           8
        .value_kind:     global_buffer
      - .address_space:  global
        .offset:         72
        .size:           8
        .value_kind:     global_buffer
      - .offset:         80
        .size:           4
        .value_kind:     by_value
      - .address_space:  global
        .offset:         88
        .size:           8
        .value_kind:     global_buffer
      - .address_space:  global
        .offset:         96
        .size:           8
        .value_kind:     global_buffer
    .group_segment_fixed_size: 17424
    .kernarg_segment_align: 8
    .kernarg_segment_size: 104
    .language:       OpenCL C
    .language_version:
      - 2
      - 0
    .max_flat_workgroup_size: 121
    .name:           bluestein_single_back_len1089_dim1_dp_op_CI_CI
    .private_segment_fixed_size: 236
    .sgpr_count:     50
    .sgpr_spill_count: 0
    .symbol:         bluestein_single_back_len1089_dim1_dp_op_CI_CI.kd
    .uniform_work_group_size: 1
    .uses_dynamic_stack: false
    .vgpr_count:     256
    .vgpr_spill_count: 58
    .wavefront_size: 32
    .workgroup_processor_mode: 1
amdhsa.target:   amdgcn-amd-amdhsa--gfx1030
amdhsa.version:
  - 1
  - 2
...

	.end_amdgpu_metadata
